;; amdgpu-corpus repo=ROCm/rocFFT kind=compiled arch=gfx1030 opt=O3
	.text
	.amdgcn_target "amdgcn-amd-amdhsa--gfx1030"
	.amdhsa_code_object_version 6
	.protected	bluestein_single_fwd_len3000_dim1_dp_op_CI_CI ; -- Begin function bluestein_single_fwd_len3000_dim1_dp_op_CI_CI
	.globl	bluestein_single_fwd_len3000_dim1_dp_op_CI_CI
	.p2align	8
	.type	bluestein_single_fwd_len3000_dim1_dp_op_CI_CI,@function
bluestein_single_fwd_len3000_dim1_dp_op_CI_CI: ; @bluestein_single_fwd_len3000_dim1_dp_op_CI_CI
; %bb.0:
	s_load_dwordx4 s[12:15], s[4:5], 0x28
	v_mul_u32_u24_e32 v1, 0x290, v0
	s_mov_b64 s[30:31], s[2:3]
	s_mov_b64 s[28:29], s[0:1]
	v_mov_b32_e32 v2, 0
	s_add_u32 s28, s28, s7
	v_lshrrev_b32_e32 v3, 16, v1
	s_addc_u32 s29, s29, 0
	s_mov_b32 s0, exec_lo
	v_add_nc_u32_e32 v1, s6, v3
	s_waitcnt lgkmcnt(0)
	v_cmpx_gt_u64_e64 s[12:13], v[1:2]
	s_cbranch_execz .LBB0_2
; %bb.1:
	s_clause 0x2
	s_load_dwordx4 s[8:11], s[4:5], 0x0
	s_load_dwordx4 s[16:19], s[4:5], 0x18
	s_load_dwordx2 s[12:13], s[4:5], 0x38
	v_mul_lo_u16 v2, 0x64, v3
	s_mov_b32 s20, 0x9b97f4a8
	s_mov_b32 s21, 0x3fe9e377
	v_mov_b32_e32 v169, 4
	s_mov_b32 s22, 0xe8584caa
	v_sub_nc_u16 v165, v0, v2
	s_mov_b32 s23, 0x3febb67a
	s_mov_b32 s25, 0xbfebb67a
	;; [unrolled: 1-line block ×3, first 2 shown]
	v_and_b32_e32 v6, 0xffff, v165
	v_and_b32_e32 v171, 0xff, v165
	v_mov_b32_e32 v10, v6
	s_waitcnt lgkmcnt(0)
	s_load_dwordx4 s[0:3], s[18:19], 0x0
	s_mov_b32 s19, 0xbfe9e377
	v_lshlrev_b32_e32 v130, 4, v10
	v_add_co_u32 v143, null, 0x12c, v10
	v_mov_b32_e32 v18, v10
	s_mov_b32 s18, s20
	v_add_co_u32 v142, null, 0x258, v18
	v_add_co_u32 v168, null, 0x384, v18
	;; [unrolled: 1-line block ×5, first 2 shown]
	s_waitcnt lgkmcnt(0)
	v_mad_u64_u32 v[4:5], null, s2, v1, 0
	v_add_co_u32 v131, s2, s8, v130
	v_add_co_ci_u32_e64 v162, null, s9, 0, s2
	v_add_co_u32 v167, null, 0xc8, v18
	v_mov_b32_e32 v0, v5
	v_add_co_u32 v146, null, 0x1f4, v18
	v_add_co_u32 v160, null, 0x320, v18
	v_mad_u64_u32 v[2:3], null, s3, v1, v[0:1]
	v_mov_b32_e32 v192, v18
	v_and_b32_e32 v170, 0xff, v166
	v_mov_b32_e32 v5, v2
	buffer_store_dword v4, off, s[28:31], 0 ; 4-byte Folded Spill
	buffer_store_dword v5, off, s[28:31], 0 offset:4 ; 4-byte Folded Spill
	global_load_dwordx4 v[11:14], v130, s[8:9]
	s_load_dwordx4 s[4:7], s[16:17], 0x0
	s_mov_b32 s17, 0xbfd3c6ef
	s_waitcnt lgkmcnt(0)
	v_mad_u64_u32 v[2:3], null, s6, v1, 0
	s_mul_i32 s2, s5, 0x12c0
	s_mul_hi_u32 s3, s4, 0x12c0
	s_add_i32 s2, s3, s2
	s_mul_i32 s3, s4, 0x12c0
	v_mov_b32_e32 v0, v3
	v_mad_u64_u32 v[0:1], null, s7, v1, v[0:1]
	s_mov_b32 s6, 0x372fe950
	s_mov_b32 s7, 0x3fd3c6ef
	;; [unrolled: 1-line block ×3, first 2 shown]
	v_mov_b32_e32 v3, v0
	v_mad_u64_u32 v[0:1], null, s4, v6, 0
	v_mad_u64_u32 v[4:5], null, s5, v6, v[1:2]
	v_lshlrev_b64 v[2:3], 4, v[2:3]
	s_mul_i32 s5, s5, 0xffff5d80
	s_sub_i32 s5, s5, s4
	v_mov_b32_e32 v1, v4
	v_add_co_u32 v2, vcc_lo, s14, v2
	v_add_co_ci_u32_e32 v3, vcc_lo, s15, v3, vcc_lo
	v_lshlrev_b64 v[0:1], 4, v[0:1]
	s_mov_b32 s15, 0xbfe2cf23
	v_add_co_u32 v8, vcc_lo, v2, v0
	v_add_co_ci_u32_e32 v9, vcc_lo, v3, v1, vcc_lo
	global_load_dwordx4 v[0:3], v[8:9], off
	v_add_co_u32 v8, vcc_lo, v8, s3
	v_add_co_ci_u32_e32 v9, vcc_lo, s2, v9, vcc_lo
	s_waitcnt vmcnt(1)
	buffer_store_dword v11, off, s[28:31], 0 offset:8 ; 4-byte Folded Spill
	buffer_store_dword v12, off, s[28:31], 0 offset:12 ; 4-byte Folded Spill
	;; [unrolled: 1-line block ×4, first 2 shown]
	s_waitcnt vmcnt(0)
	v_mul_f64 v[4:5], v[2:3], v[13:14]
	v_fma_f64 v[4:5], v[0:1], v[11:12], v[4:5]
	v_mul_f64 v[0:1], v[0:1], v[13:14]
	v_fma_f64 v[6:7], v[2:3], v[11:12], -v[0:1]
	global_load_dwordx4 v[0:3], v[8:9], off
	ds_write_b128 v130, v[4:7]
	v_add_co_u32 v4, vcc_lo, 0x1000, v131
	v_add_co_ci_u32_e32 v5, vcc_lo, 0, v162, vcc_lo
	v_add_co_u32 v8, vcc_lo, v8, s3
	v_add_co_ci_u32_e32 v9, vcc_lo, s2, v9, vcc_lo
	global_load_dwordx4 v[10:13], v[4:5], off offset:704
	s_waitcnt vmcnt(0)
	buffer_store_dword v10, off, s[28:31], 0 offset:40 ; 4-byte Folded Spill
	buffer_store_dword v11, off, s[28:31], 0 offset:44 ; 4-byte Folded Spill
	;; [unrolled: 1-line block ×4, first 2 shown]
	v_mul_f64 v[4:5], v[2:3], v[12:13]
	v_fma_f64 v[4:5], v[0:1], v[10:11], v[4:5]
	v_mul_f64 v[0:1], v[0:1], v[12:13]
	v_fma_f64 v[6:7], v[2:3], v[10:11], -v[0:1]
	global_load_dwordx4 v[0:3], v[8:9], off
	ds_write_b128 v130, v[4:7] offset:4800
	v_add_co_u32 v4, vcc_lo, 0x2000, v131
	v_add_co_ci_u32_e32 v5, vcc_lo, 0, v162, vcc_lo
	global_load_dwordx4 v[10:13], v[4:5], off offset:1408
	s_waitcnt vmcnt(0)
	buffer_store_dword v10, off, s[28:31], 0 offset:56 ; 4-byte Folded Spill
	buffer_store_dword v11, off, s[28:31], 0 offset:60 ; 4-byte Folded Spill
	;; [unrolled: 1-line block ×4, first 2 shown]
	v_mul_f64 v[4:5], v[2:3], v[12:13]
	v_fma_f64 v[4:5], v[0:1], v[10:11], v[4:5]
	v_mul_f64 v[0:1], v[0:1], v[12:13]
	v_fma_f64 v[6:7], v[2:3], v[10:11], -v[0:1]
	v_add_co_u32 v10, vcc_lo, v8, s3
	v_add_co_ci_u32_e32 v11, vcc_lo, s2, v9, vcc_lo
	v_add_co_u32 v0, vcc_lo, 0x3800, v131
	v_add_co_ci_u32_e32 v1, vcc_lo, 0, v162, vcc_lo
	global_load_dwordx4 v[12:15], v[0:1], off offset:64
	ds_write_b128 v130, v[4:7] offset:9600
	global_load_dwordx4 v[2:5], v[10:11], off
	v_add_co_u32 v10, vcc_lo, v10, s3
	v_add_co_ci_u32_e32 v11, vcc_lo, s2, v11, vcc_lo
	s_waitcnt vmcnt(1)
	buffer_store_dword v12, off, s[28:31], 0 offset:72 ; 4-byte Folded Spill
	buffer_store_dword v13, off, s[28:31], 0 offset:76 ; 4-byte Folded Spill
	;; [unrolled: 1-line block ×4, first 2 shown]
	s_waitcnt vmcnt(0)
	v_mul_f64 v[6:7], v[4:5], v[14:15]
	v_fma_f64 v[6:7], v[2:3], v[12:13], v[6:7]
	v_mul_f64 v[2:3], v[2:3], v[14:15]
	v_fma_f64 v[8:9], v[4:5], v[12:13], -v[2:3]
	global_load_dwordx4 v[2:5], v[10:11], off
	ds_write_b128 v130, v[6:9] offset:14400
	v_add_co_u32 v6, vcc_lo, 0x4800, v131
	v_add_co_ci_u32_e32 v7, vcc_lo, 0, v162, vcc_lo
	v_add_co_u32 v10, vcc_lo, v10, s3
	v_add_co_ci_u32_e32 v11, vcc_lo, s2, v11, vcc_lo
	global_load_dwordx4 v[12:15], v[6:7], off offset:768
	s_waitcnt vmcnt(0)
	buffer_store_dword v12, off, s[28:31], 0 offset:88 ; 4-byte Folded Spill
	buffer_store_dword v13, off, s[28:31], 0 offset:92 ; 4-byte Folded Spill
	;; [unrolled: 1-line block ×4, first 2 shown]
	v_mul_f64 v[6:7], v[4:5], v[14:15]
	v_fma_f64 v[6:7], v[2:3], v[12:13], v[6:7]
	v_mul_f64 v[2:3], v[2:3], v[14:15]
	v_fma_f64 v[8:9], v[4:5], v[12:13], -v[2:3]
	global_load_dwordx4 v[2:5], v[10:11], off
	ds_write_b128 v130, v[6:9] offset:19200
	v_add_co_u32 v6, vcc_lo, 0x5800, v131
	v_add_co_ci_u32_e32 v7, vcc_lo, 0, v162, vcc_lo
	global_load_dwordx4 v[12:15], v[6:7], off offset:1472
	s_waitcnt vmcnt(0)
	buffer_store_dword v12, off, s[28:31], 0 offset:104 ; 4-byte Folded Spill
	buffer_store_dword v13, off, s[28:31], 0 offset:108 ; 4-byte Folded Spill
	;; [unrolled: 1-line block ×4, first 2 shown]
	v_mul_f64 v[6:7], v[4:5], v[14:15]
	v_fma_f64 v[6:7], v[2:3], v[12:13], v[6:7]
	v_mul_f64 v[2:3], v[2:3], v[14:15]
	v_fma_f64 v[8:9], v[4:5], v[12:13], -v[2:3]
	v_add_co_u32 v12, vcc_lo, v10, s3
	v_add_co_ci_u32_e32 v13, vcc_lo, s2, v11, vcc_lo
	v_add_co_u32 v2, vcc_lo, 0x7000, v131
	v_add_co_ci_u32_e32 v3, vcc_lo, 0, v162, vcc_lo
	global_load_dwordx4 v[14:17], v[2:3], off offset:128
	ds_write_b128 v130, v[6:9] offset:24000
	global_load_dwordx4 v[4:7], v[12:13], off
	v_add_co_u32 v12, vcc_lo, v12, s3
	v_add_co_ci_u32_e32 v13, vcc_lo, s2, v13, vcc_lo
	s_waitcnt vmcnt(1)
	buffer_store_dword v14, off, s[28:31], 0 offset:120 ; 4-byte Folded Spill
	buffer_store_dword v15, off, s[28:31], 0 offset:124 ; 4-byte Folded Spill
	;; [unrolled: 1-line block ×4, first 2 shown]
	s_waitcnt vmcnt(0)
	v_mul_f64 v[8:9], v[6:7], v[16:17]
	v_fma_f64 v[8:9], v[4:5], v[14:15], v[8:9]
	v_mul_f64 v[4:5], v[4:5], v[16:17]
	v_fma_f64 v[10:11], v[6:7], v[14:15], -v[4:5]
	global_load_dwordx4 v[4:7], v[12:13], off
	ds_write_b128 v130, v[8:11] offset:28800
	v_add_co_u32 v8, vcc_lo, 0x8000, v131
	v_add_co_ci_u32_e32 v9, vcc_lo, 0, v162, vcc_lo
	v_add_co_u32 v12, vcc_lo, v12, s3
	v_add_co_ci_u32_e32 v13, vcc_lo, s2, v13, vcc_lo
	global_load_dwordx4 v[14:17], v[8:9], off offset:832
	s_waitcnt vmcnt(0)
	buffer_store_dword v14, off, s[28:31], 0 offset:136 ; 4-byte Folded Spill
	buffer_store_dword v15, off, s[28:31], 0 offset:140 ; 4-byte Folded Spill
	;; [unrolled: 1-line block ×4, first 2 shown]
	v_mul_f64 v[8:9], v[6:7], v[16:17]
	v_fma_f64 v[8:9], v[4:5], v[14:15], v[8:9]
	v_mul_f64 v[4:5], v[4:5], v[16:17]
	v_fma_f64 v[10:11], v[6:7], v[14:15], -v[4:5]
	global_load_dwordx4 v[4:7], v[12:13], off
	ds_write_b128 v130, v[8:11] offset:33600
	v_add_co_u32 v8, vcc_lo, 0x9000, v131
	v_add_co_ci_u32_e32 v9, vcc_lo, 0, v162, vcc_lo
	global_load_dwordx4 v[14:17], v[8:9], off offset:1536
	s_waitcnt vmcnt(0)
	buffer_store_dword v14, off, s[28:31], 0 offset:152 ; 4-byte Folded Spill
	buffer_store_dword v15, off, s[28:31], 0 offset:156 ; 4-byte Folded Spill
	;; [unrolled: 1-line block ×4, first 2 shown]
	v_mul_f64 v[8:9], v[6:7], v[16:17]
	v_fma_f64 v[8:9], v[4:5], v[14:15], v[8:9]
	v_mul_f64 v[4:5], v[4:5], v[16:17]
	v_fma_f64 v[10:11], v[6:7], v[14:15], -v[4:5]
	v_add_co_u32 v14, vcc_lo, v12, s3
	v_add_co_ci_u32_e32 v15, vcc_lo, s2, v13, vcc_lo
	v_add_co_u32 v4, vcc_lo, 0xa800, v131
	v_add_co_ci_u32_e32 v5, vcc_lo, 0, v162, vcc_lo
	global_load_dwordx4 v[19:22], v[4:5], off offset:192
	ds_write_b128 v130, v[8:11] offset:38400
	global_load_dwordx4 v[6:9], v[14:15], off
	v_mad_u64_u32 v[14:15], null, 0xffff5d80, s4, v[14:15]
	s_waitcnt vmcnt(1)
	buffer_store_dword v19, off, s[28:31], 0 offset:168 ; 4-byte Folded Spill
	buffer_store_dword v20, off, s[28:31], 0 offset:172 ; 4-byte Folded Spill
	;; [unrolled: 1-line block ×4, first 2 shown]
	v_add_nc_u32_e32 v15, s5, v15
	s_waitcnt vmcnt(0)
	v_mul_f64 v[10:11], v[8:9], v[21:22]
	v_fma_f64 v[10:11], v[6:7], v[19:20], v[10:11]
	v_mul_f64 v[6:7], v[6:7], v[21:22]
	v_fma_f64 v[12:13], v[8:9], v[19:20], -v[6:7]
	ds_write_b128 v130, v[10:13] offset:43200
	global_load_dwordx4 v[6:9], v[14:15], off
	global_load_dwordx4 v[19:22], v130, s[8:9] offset:1600
	v_add_co_u32 v14, vcc_lo, v14, s3
	v_add_co_ci_u32_e32 v15, vcc_lo, s2, v15, vcc_lo
	v_add_co_u32 v16, vcc_lo, 0x1800, v131
	v_add_co_ci_u32_e32 v17, vcc_lo, 0, v162, vcc_lo
	s_mov_b32 s9, 0xbfee6f0e
	s_waitcnt vmcnt(0)
	buffer_store_dword v19, off, s[28:31], 0 offset:184 ; 4-byte Folded Spill
	buffer_store_dword v20, off, s[28:31], 0 offset:188 ; 4-byte Folded Spill
	;; [unrolled: 1-line block ×4, first 2 shown]
	v_mul_f64 v[10:11], v[8:9], v[21:22]
	v_fma_f64 v[10:11], v[6:7], v[19:20], v[10:11]
	v_mul_f64 v[6:7], v[6:7], v[21:22]
	v_fma_f64 v[12:13], v[8:9], v[19:20], -v[6:7]
	global_load_dwordx4 v[19:22], v[16:17], off offset:256
	global_load_dwordx4 v[6:9], v[14:15], off
	v_add_co_u32 v14, vcc_lo, v14, s3
	v_add_co_ci_u32_e32 v15, vcc_lo, s2, v15, vcc_lo
	ds_write_b128 v130, v[10:13] offset:1600
	s_waitcnt vmcnt(1)
	buffer_store_dword v19, off, s[28:31], 0 offset:200 ; 4-byte Folded Spill
	buffer_store_dword v20, off, s[28:31], 0 offset:204 ; 4-byte Folded Spill
	;; [unrolled: 1-line block ×4, first 2 shown]
	s_waitcnt vmcnt(0)
	v_mul_f64 v[10:11], v[8:9], v[21:22]
	v_fma_f64 v[10:11], v[6:7], v[19:20], v[10:11]
	v_mul_f64 v[6:7], v[6:7], v[21:22]
	v_fma_f64 v[12:13], v[8:9], v[19:20], -v[6:7]
	global_load_dwordx4 v[6:9], v[14:15], off
	ds_write_b128 v130, v[10:13] offset:6400
	v_add_co_u32 v10, vcc_lo, 0x2800, v131
	v_add_co_ci_u32_e32 v11, vcc_lo, 0, v162, vcc_lo
	v_add_co_u32 v14, vcc_lo, v14, s3
	v_add_co_ci_u32_e32 v15, vcc_lo, s2, v15, vcc_lo
	global_load_dwordx4 v[19:22], v[10:11], off offset:960
	s_waitcnt vmcnt(0)
	buffer_store_dword v19, off, s[28:31], 0 offset:232 ; 4-byte Folded Spill
	buffer_store_dword v20, off, s[28:31], 0 offset:236 ; 4-byte Folded Spill
	;; [unrolled: 1-line block ×4, first 2 shown]
	v_mul_f64 v[10:11], v[8:9], v[21:22]
	v_fma_f64 v[10:11], v[6:7], v[19:20], v[10:11]
	v_mul_f64 v[6:7], v[6:7], v[21:22]
	v_fma_f64 v[12:13], v[8:9], v[19:20], -v[6:7]
	ds_write_b128 v130, v[10:13] offset:11200
	global_load_dwordx4 v[6:9], v[14:15], off
	global_load_dwordx4 v[19:22], v[0:1], off offset:1664
	s_waitcnt vmcnt(0)
	buffer_store_dword v19, off, s[28:31], 0 offset:216 ; 4-byte Folded Spill
	buffer_store_dword v20, off, s[28:31], 0 offset:220 ; 4-byte Folded Spill
	;; [unrolled: 1-line block ×4, first 2 shown]
	v_mul_f64 v[0:1], v[8:9], v[21:22]
	v_fma_f64 v[10:11], v[6:7], v[19:20], v[0:1]
	v_mul_f64 v[0:1], v[6:7], v[21:22]
	v_fma_f64 v[12:13], v[8:9], v[19:20], -v[0:1]
	v_add_co_u32 v0, vcc_lo, v14, s3
	v_add_co_ci_u32_e32 v1, vcc_lo, s2, v15, vcc_lo
	v_add_co_u32 v14, vcc_lo, 0x5000, v131
	v_add_co_ci_u32_e32 v15, vcc_lo, 0, v162, vcc_lo
	global_load_dwordx4 v[6:9], v[0:1], off
	v_add_co_u32 v0, vcc_lo, v0, s3
	global_load_dwordx4 v[19:22], v[14:15], off offset:320
	v_add_co_ci_u32_e32 v1, vcc_lo, s2, v1, vcc_lo
	ds_write_b128 v130, v[10:13] offset:16000
	s_waitcnt vmcnt(0)
	buffer_store_dword v19, off, s[28:31], 0 offset:248 ; 4-byte Folded Spill
	buffer_store_dword v20, off, s[28:31], 0 offset:252 ; 4-byte Folded Spill
	;; [unrolled: 1-line block ×4, first 2 shown]
	v_mul_f64 v[10:11], v[8:9], v[21:22]
	v_fma_f64 v[10:11], v[6:7], v[19:20], v[10:11]
	v_mul_f64 v[6:7], v[6:7], v[21:22]
	v_fma_f64 v[12:13], v[8:9], v[19:20], -v[6:7]
	global_load_dwordx4 v[6:9], v[0:1], off
	ds_write_b128 v130, v[10:13] offset:20800
	v_add_co_u32 v10, vcc_lo, 0x6000, v131
	v_add_co_ci_u32_e32 v11, vcc_lo, 0, v162, vcc_lo
	global_load_dwordx4 v[19:22], v[10:11], off offset:1024
	s_waitcnt vmcnt(0)
	buffer_store_dword v19, off, s[28:31], 0 offset:280 ; 4-byte Folded Spill
	buffer_store_dword v20, off, s[28:31], 0 offset:284 ; 4-byte Folded Spill
	;; [unrolled: 1-line block ×4, first 2 shown]
	v_mul_f64 v[10:11], v[8:9], v[21:22]
	v_fma_f64 v[10:11], v[6:7], v[19:20], v[10:11]
	v_mul_f64 v[6:7], v[6:7], v[21:22]
	v_fma_f64 v[12:13], v[8:9], v[19:20], -v[6:7]
	ds_write_b128 v130, v[10:13] offset:25600
	v_add_co_u32 v10, vcc_lo, v0, s3
	v_add_co_ci_u32_e32 v11, vcc_lo, s2, v1, vcc_lo
	global_load_dwordx4 v[6:9], v[10:11], off
	global_load_dwordx4 v[19:22], v[2:3], off offset:1728
	v_add_co_u32 v10, vcc_lo, v10, s3
	v_add_co_ci_u32_e32 v11, vcc_lo, s2, v11, vcc_lo
	v_add_co_u32 v12, vcc_lo, 0x8800, v131
	v_add_co_ci_u32_e32 v13, vcc_lo, 0, v162, vcc_lo
	s_waitcnt vmcnt(0)
	buffer_store_dword v19, off, s[28:31], 0 offset:264 ; 4-byte Folded Spill
	buffer_store_dword v20, off, s[28:31], 0 offset:268 ; 4-byte Folded Spill
	;; [unrolled: 1-line block ×4, first 2 shown]
	v_mul_f64 v[0:1], v[8:9], v[21:22]
	v_mul_f64 v[2:3], v[6:7], v[21:22]
	v_fma_f64 v[0:1], v[6:7], v[19:20], v[0:1]
	v_fma_f64 v[2:3], v[8:9], v[19:20], -v[2:3]
	global_load_dwordx4 v[19:22], v[12:13], off offset:384
	ds_write_b128 v130, v[0:3] offset:30400
	global_load_dwordx4 v[0:3], v[10:11], off
	v_add_co_u32 v10, vcc_lo, v10, s3
	v_add_co_ci_u32_e32 v11, vcc_lo, s2, v11, vcc_lo
	s_waitcnt vmcnt(1)
	buffer_store_dword v19, off, s[28:31], 0 offset:296 ; 4-byte Folded Spill
	buffer_store_dword v20, off, s[28:31], 0 offset:300 ; 4-byte Folded Spill
	;; [unrolled: 1-line block ×4, first 2 shown]
	s_waitcnt vmcnt(0)
	v_mul_f64 v[6:7], v[2:3], v[21:22]
	v_fma_f64 v[6:7], v[0:1], v[19:20], v[6:7]
	v_mul_f64 v[0:1], v[0:1], v[21:22]
	v_fma_f64 v[8:9], v[2:3], v[19:20], -v[0:1]
	global_load_dwordx4 v[0:3], v[10:11], off
	ds_write_b128 v130, v[6:9] offset:35200
	v_add_co_u32 v6, vcc_lo, 0x9800, v131
	v_add_co_ci_u32_e32 v7, vcc_lo, 0, v162, vcc_lo
	global_load_dwordx4 v[19:22], v[6:7], off offset:1088
	s_waitcnt vmcnt(0)
	buffer_store_dword v19, off, s[28:31], 0 offset:328 ; 4-byte Folded Spill
	buffer_store_dword v20, off, s[28:31], 0 offset:332 ; 4-byte Folded Spill
	;; [unrolled: 1-line block ×4, first 2 shown]
	v_mul_f64 v[6:7], v[2:3], v[21:22]
	v_fma_f64 v[6:7], v[0:1], v[19:20], v[6:7]
	v_mul_f64 v[0:1], v[0:1], v[21:22]
	v_fma_f64 v[8:9], v[2:3], v[19:20], -v[0:1]
	ds_write_b128 v130, v[6:9] offset:40000
	v_add_co_u32 v8, vcc_lo, v10, s3
	v_add_co_ci_u32_e32 v9, vcc_lo, s2, v11, vcc_lo
	global_load_dwordx4 v[0:3], v[8:9], off
	global_load_dwordx4 v[19:22], v[4:5], off offset:1792
	v_mad_u64_u32 v[8:9], null, 0xffff5d80, s4, v[8:9]
	s_waitcnt vmcnt(0)
	buffer_store_dword v19, off, s[28:31], 0 offset:312 ; 4-byte Folded Spill
	buffer_store_dword v20, off, s[28:31], 0 offset:316 ; 4-byte Folded Spill
	;; [unrolled: 1-line block ×4, first 2 shown]
	v_add_nc_u32_e32 v9, s5, v9
	s_mov_b32 s4, 0x134454ff
	s_mov_b32 s5, 0x3fee6f0e
	;; [unrolled: 1-line block ×3, first 2 shown]
	v_mul_f64 v[4:5], v[2:3], v[21:22]
	v_fma_f64 v[4:5], v[0:1], v[19:20], v[4:5]
	v_mul_f64 v[0:1], v[0:1], v[21:22]
	v_fma_f64 v[6:7], v[2:3], v[19:20], -v[0:1]
	global_load_dwordx4 v[0:3], v[8:9], off
	ds_write_b128 v130, v[4:7] offset:44800
	v_add_co_u32 v4, vcc_lo, 0x800, v131
	v_add_co_ci_u32_e32 v5, vcc_lo, 0, v162, vcc_lo
	v_add_co_u32 v8, vcc_lo, v8, s3
	v_add_co_ci_u32_e32 v9, vcc_lo, s2, v9, vcc_lo
	global_load_dwordx4 v[19:22], v[4:5], off offset:1152
	s_waitcnt vmcnt(0)
	buffer_store_dword v19, off, s[28:31], 0 offset:344 ; 4-byte Folded Spill
	buffer_store_dword v20, off, s[28:31], 0 offset:348 ; 4-byte Folded Spill
	;; [unrolled: 1-line block ×4, first 2 shown]
	v_mul_f64 v[4:5], v[2:3], v[21:22]
	v_fma_f64 v[4:5], v[0:1], v[19:20], v[4:5]
	v_mul_f64 v[0:1], v[0:1], v[21:22]
	v_fma_f64 v[6:7], v[2:3], v[19:20], -v[0:1]
	ds_write_b128 v130, v[4:7] offset:3200
	global_load_dwordx4 v[0:3], v[8:9], off
	global_load_dwordx4 v[19:22], v[16:17], off offset:1856
	v_add_co_u32 v8, vcc_lo, v8, s3
	v_add_co_ci_u32_e32 v9, vcc_lo, s2, v9, vcc_lo
	s_waitcnt vmcnt(0)
	buffer_store_dword v19, off, s[28:31], 0 offset:360 ; 4-byte Folded Spill
	buffer_store_dword v20, off, s[28:31], 0 offset:364 ; 4-byte Folded Spill
	;; [unrolled: 1-line block ×5, first 2 shown]
	v_mul_f64 v[4:5], v[2:3], v[21:22]
	v_fma_f64 v[4:5], v[0:1], v[19:20], v[4:5]
	v_mul_f64 v[0:1], v[0:1], v[21:22]
	v_fma_f64 v[6:7], v[2:3], v[19:20], -v[0:1]
	global_load_dwordx4 v[0:3], v[8:9], off
	ds_write_b128 v130, v[4:7] offset:8000
	v_add_co_u32 v4, vcc_lo, 0x3000, v131
	v_add_co_ci_u32_e32 v5, vcc_lo, 0, v162, vcc_lo
	v_add_co_u32 v8, vcc_lo, v8, s3
	v_add_co_ci_u32_e32 v9, vcc_lo, s2, v9, vcc_lo
	global_load_dwordx4 v[16:19], v[4:5], off offset:512
	s_waitcnt vmcnt(0)
	buffer_store_dword v16, off, s[28:31], 0 offset:376 ; 4-byte Folded Spill
	buffer_store_dword v17, off, s[28:31], 0 offset:380 ; 4-byte Folded Spill
	;; [unrolled: 1-line block ×4, first 2 shown]
	v_mul_f64 v[4:5], v[2:3], v[18:19]
	v_fma_f64 v[4:5], v[0:1], v[16:17], v[4:5]
	v_mul_f64 v[0:1], v[0:1], v[18:19]
	v_fma_f64 v[6:7], v[2:3], v[16:17], -v[0:1]
	global_load_dwordx4 v[0:3], v[8:9], off
	ds_write_b128 v130, v[4:7] offset:12800
	v_add_co_u32 v4, vcc_lo, 0x4000, v131
	v_add_co_ci_u32_e32 v5, vcc_lo, 0, v162, vcc_lo
	v_add_co_u32 v8, vcc_lo, v8, s3
	v_add_co_ci_u32_e32 v9, vcc_lo, s2, v9, vcc_lo
	global_load_dwordx4 v[16:19], v[4:5], off offset:1216
	s_waitcnt vmcnt(0)
	buffer_store_dword v16, off, s[28:31], 0 offset:408 ; 4-byte Folded Spill
	buffer_store_dword v17, off, s[28:31], 0 offset:412 ; 4-byte Folded Spill
	;; [unrolled: 1-line block ×4, first 2 shown]
	v_mul_f64 v[4:5], v[2:3], v[18:19]
	v_fma_f64 v[4:5], v[0:1], v[16:17], v[4:5]
	v_mul_f64 v[0:1], v[0:1], v[18:19]
	v_fma_f64 v[6:7], v[2:3], v[16:17], -v[0:1]
	ds_write_b128 v130, v[4:7] offset:17600
	global_load_dwordx4 v[0:3], v[8:9], off
	global_load_dwordx4 v[14:17], v[14:15], off offset:1920
	v_add_co_u32 v8, vcc_lo, v8, s3
	v_add_co_ci_u32_e32 v9, vcc_lo, s2, v9, vcc_lo
	s_waitcnt vmcnt(0)
	buffer_store_dword v14, off, s[28:31], 0 offset:392 ; 4-byte Folded Spill
	buffer_store_dword v15, off, s[28:31], 0 offset:396 ; 4-byte Folded Spill
	;; [unrolled: 1-line block ×4, first 2 shown]
	v_mul_f64 v[4:5], v[2:3], v[16:17]
	v_fma_f64 v[4:5], v[0:1], v[14:15], v[4:5]
	v_mul_f64 v[0:1], v[0:1], v[16:17]
	v_fma_f64 v[6:7], v[2:3], v[14:15], -v[0:1]
	global_load_dwordx4 v[0:3], v[8:9], off
	ds_write_b128 v130, v[4:7] offset:22400
	v_add_co_u32 v4, vcc_lo, 0x6800, v131
	v_add_co_ci_u32_e32 v5, vcc_lo, 0, v162, vcc_lo
	v_add_co_u32 v8, vcc_lo, v8, s3
	v_add_co_ci_u32_e32 v9, vcc_lo, s2, v9, vcc_lo
	global_load_dwordx4 v[14:17], v[4:5], off offset:576
	s_waitcnt vmcnt(0)
	buffer_store_dword v14, off, s[28:31], 0 offset:424 ; 4-byte Folded Spill
	buffer_store_dword v15, off, s[28:31], 0 offset:428 ; 4-byte Folded Spill
	;; [unrolled: 1-line block ×4, first 2 shown]
	v_mul_f64 v[4:5], v[2:3], v[16:17]
	v_fma_f64 v[4:5], v[0:1], v[14:15], v[4:5]
	v_mul_f64 v[0:1], v[0:1], v[16:17]
	v_fma_f64 v[6:7], v[2:3], v[14:15], -v[0:1]
	global_load_dwordx4 v[0:3], v[8:9], off
	ds_write_b128 v130, v[4:7] offset:27200
	v_add_co_u32 v4, vcc_lo, 0x7800, v131
	v_add_co_ci_u32_e32 v5, vcc_lo, 0, v162, vcc_lo
	v_add_co_u32 v8, vcc_lo, v8, s3
	v_add_co_ci_u32_e32 v9, vcc_lo, s2, v9, vcc_lo
	global_load_dwordx4 v[14:17], v[4:5], off offset:1280
	s_waitcnt vmcnt(0)
	buffer_store_dword v14, off, s[28:31], 0 offset:456 ; 4-byte Folded Spill
	buffer_store_dword v15, off, s[28:31], 0 offset:460 ; 4-byte Folded Spill
	;; [unrolled: 1-line block ×4, first 2 shown]
	v_mul_f64 v[4:5], v[2:3], v[16:17]
	v_fma_f64 v[4:5], v[0:1], v[14:15], v[4:5]
	v_mul_f64 v[0:1], v[0:1], v[16:17]
	v_fma_f64 v[6:7], v[2:3], v[14:15], -v[0:1]
	ds_write_b128 v130, v[4:7] offset:32000
	global_load_dwordx4 v[0:3], v[8:9], off
	global_load_dwordx4 v[10:13], v[12:13], off offset:1984
	v_add_co_u32 v8, vcc_lo, v8, s3
	v_add_co_ci_u32_e32 v9, vcc_lo, s2, v9, vcc_lo
	s_waitcnt vmcnt(0)
	buffer_store_dword v10, off, s[28:31], 0 offset:440 ; 4-byte Folded Spill
	buffer_store_dword v11, off, s[28:31], 0 offset:444 ; 4-byte Folded Spill
	;; [unrolled: 1-line block ×4, first 2 shown]
	v_mul_f64 v[4:5], v[2:3], v[12:13]
	v_fma_f64 v[4:5], v[0:1], v[10:11], v[4:5]
	v_mul_f64 v[0:1], v[0:1], v[12:13]
	v_fma_f64 v[6:7], v[2:3], v[10:11], -v[0:1]
	global_load_dwordx4 v[0:3], v[8:9], off
	ds_write_b128 v130, v[4:7] offset:36800
	v_add_co_u32 v4, vcc_lo, 0xa000, v131
	v_add_co_ci_u32_e32 v5, vcc_lo, 0, v162, vcc_lo
	global_load_dwordx4 v[10:13], v[4:5], off offset:640
	s_waitcnt vmcnt(0)
	buffer_store_dword v10, off, s[28:31], 0 offset:472 ; 4-byte Folded Spill
	buffer_store_dword v11, off, s[28:31], 0 offset:476 ; 4-byte Folded Spill
	;; [unrolled: 1-line block ×4, first 2 shown]
	v_mul_f64 v[4:5], v[2:3], v[12:13]
	v_fma_f64 v[4:5], v[0:1], v[10:11], v[4:5]
	v_mul_f64 v[0:1], v[0:1], v[12:13]
	v_fma_f64 v[6:7], v[2:3], v[10:11], -v[0:1]
	v_add_co_u32 v0, vcc_lo, v8, s3
	v_add_co_ci_u32_e32 v1, vcc_lo, s2, v9, vcc_lo
	s_mov_b32 s2, 0x4755a5e
	s_mov_b32 s3, 0x3fe2cf23
	s_mov_b32 s14, s2
	global_load_dwordx4 v[0:3], v[0:1], off
	ds_write_b128 v130, v[4:7] offset:41600
	v_add_co_u32 v4, vcc_lo, 0xb000, v131
	v_add_co_ci_u32_e32 v5, vcc_lo, 0, v162, vcc_lo
	global_load_dwordx4 v[4:7], v[4:5], off offset:1344
	s_waitcnt vmcnt(0)
	v_mov_b32_e32 v9, v7
	v_mov_b32_e32 v8, v6
	;; [unrolled: 1-line block ×4, first 2 shown]
	v_mul_f64 v[4:5], v[2:3], v[8:9]
	v_fma_f64 v[4:5], v[0:1], v[6:7], v[4:5]
	v_mul_f64 v[0:1], v[0:1], v[8:9]
	buffer_store_dword v6, off, s[28:31], 0 offset:24 ; 4-byte Folded Spill
	buffer_store_dword v7, off, s[28:31], 0 offset:28 ; 4-byte Folded Spill
	;; [unrolled: 1-line block ×4, first 2 shown]
	v_fma_f64 v[6:7], v[2:3], v[6:7], -v[0:1]
	ds_write_b128 v130, v[4:7] offset:46400
	s_waitcnt lgkmcnt(0)
	s_waitcnt_vscnt null, 0x0
	s_barrier
	buffer_gl0_inv
	ds_read_b128 v[60:63], v130
	ds_read_b128 v[56:59], v130 offset:4800
	ds_read_b128 v[76:79], v130 offset:9600
	;; [unrolled: 1-line block ×29, first 2 shown]
	s_waitcnt lgkmcnt(23)
	v_add_f64 v[66:67], v[120:121], v[124:125]
	s_waitcnt lgkmcnt(21)
	v_add_f64 v[72:73], v[78:79], -v[134:135]
	v_add_f64 v[74:75], v[122:123], -v[126:127]
	;; [unrolled: 1-line block ×4, first 2 shown]
	v_add_f64 v[64:65], v[60:61], v[76:77]
	v_add_f64 v[136:137], v[124:125], -v[132:133]
	s_waitcnt lgkmcnt(0)
	s_barrier
	buffer_gl0_inv
	v_fma_f64 v[68:69], v[66:67], -0.5, v[60:61]
	v_add_f64 v[70:71], v[70:71], v[128:129]
	v_add_f64 v[128:129], v[120:121], -v[76:77]
	v_add_f64 v[64:65], v[64:65], v[120:121]
	v_add_f64 v[120:121], v[120:121], -v[124:125]
	v_fma_f64 v[66:67], v[72:73], s[4:5], v[68:69]
	v_fma_f64 v[68:69], v[72:73], s[8:9], v[68:69]
	v_add_f64 v[128:129], v[128:129], v[136:137]
	v_add_f64 v[64:65], v[64:65], v[124:125]
	v_add_f64 v[124:125], v[78:79], -v[122:123]
	v_add_f64 v[136:137], v[40:41], -v[44:45]
	v_fma_f64 v[66:67], v[74:75], s[2:3], v[66:67]
	v_fma_f64 v[68:69], v[74:75], s[14:15], v[68:69]
	v_add_f64 v[64:65], v[64:65], v[132:133]
	v_fma_f64 v[66:67], v[70:71], s[6:7], v[66:67]
	v_fma_f64 v[70:71], v[70:71], s[6:7], v[68:69]
	v_add_f64 v[68:69], v[76:77], v[132:133]
	v_fma_f64 v[68:69], v[68:69], -0.5, v[60:61]
	v_fma_f64 v[60:61], v[74:75], s[8:9], v[68:69]
	v_fma_f64 v[68:69], v[74:75], s[4:5], v[68:69]
	;; [unrolled: 1-line block ×4, first 2 shown]
	v_add_f64 v[72:73], v[76:77], -v[132:133]
	v_add_f64 v[132:133], v[134:135], -v[126:127]
	v_fma_f64 v[60:61], v[128:129], s[6:7], v[60:61]
	v_fma_f64 v[74:75], v[128:129], s[6:7], v[68:69]
	v_add_f64 v[68:69], v[62:63], v[78:79]
	v_add_f64 v[124:125], v[124:125], v[132:133]
	;; [unrolled: 1-line block ×6, first 2 shown]
	v_fma_f64 v[68:69], v[68:69], -0.5, v[62:63]
	v_fma_f64 v[76:77], v[72:73], s[8:9], v[68:69]
	v_fma_f64 v[68:69], v[72:73], s[4:5], v[68:69]
	;; [unrolled: 1-line block ×6, first 2 shown]
	v_add_f64 v[68:69], v[78:79], v[134:135]
	v_add_f64 v[76:77], v[122:123], -v[78:79]
	v_add_f64 v[78:79], v[126:127], -v[134:135]
	;; [unrolled: 1-line block ×4, first 2 shown]
	v_fma_f64 v[62:63], v[68:69], -0.5, v[62:63]
	v_add_f64 v[76:77], v[76:77], v[78:79]
	v_add_f64 v[126:127], v[126:127], v[134:135]
	v_add_f64 v[134:135], v[52:53], -v[48:49]
	v_fma_f64 v[68:69], v[120:121], s[4:5], v[62:63]
	v_fma_f64 v[62:63], v[120:121], s[8:9], v[62:63]
	v_add_f64 v[120:121], v[54:55], -v[42:43]
	v_add_f64 v[134:135], v[134:135], v[136:137]
	v_fma_f64 v[68:69], v[72:73], s[14:15], v[68:69]
	v_fma_f64 v[62:63], v[72:73], s[2:3], v[62:63]
	v_add_f64 v[72:73], v[52:53], v[40:41]
	v_fma_f64 v[122:123], v[76:77], s[6:7], v[68:69]
	v_fma_f64 v[62:63], v[76:77], s[6:7], v[62:63]
	v_fma_f64 v[72:73], v[72:73], -0.5, v[56:57]
	v_add_f64 v[76:77], v[50:51], -v[46:47]
	v_add_f64 v[68:69], v[56:57], v[48:49]
	v_fma_f64 v[78:79], v[76:77], s[4:5], v[72:73]
	v_fma_f64 v[72:73], v[76:77], s[8:9], v[72:73]
	v_add_f64 v[68:69], v[68:69], v[52:53]
	v_fma_f64 v[78:79], v[120:121], s[2:3], v[78:79]
	v_fma_f64 v[72:73], v[120:121], s[14:15], v[72:73]
	v_add_f64 v[68:69], v[68:69], v[40:41]
	v_add_f64 v[40:41], v[52:53], -v[40:41]
	v_add_f64 v[52:53], v[50:51], -v[54:55]
	v_fma_f64 v[78:79], v[126:127], s[6:7], v[78:79]
	v_fma_f64 v[72:73], v[126:127], s[6:7], v[72:73]
	v_add_f64 v[126:127], v[48:49], v[44:45]
	v_add_f64 v[68:69], v[68:69], v[44:45]
	v_add_f64 v[44:45], v[48:49], -v[44:45]
	v_fma_f64 v[56:57], v[126:127], -0.5, v[56:57]
	v_fma_f64 v[126:127], v[120:121], s[8:9], v[56:57]
	v_fma_f64 v[56:57], v[120:121], s[4:5], v[56:57]
	;; [unrolled: 1-line block ×6, first 2 shown]
	v_add_f64 v[56:57], v[58:59], v[50:51]
	v_add_f64 v[134:135], v[46:47], -v[42:43]
	v_add_f64 v[56:57], v[56:57], v[54:55]
	v_add_f64 v[52:53], v[52:53], v[134:135]
	v_add_f64 v[56:57], v[56:57], v[42:43]
	v_add_f64 v[120:121], v[56:57], v[46:47]
	v_add_f64 v[56:57], v[54:55], v[42:43]
	v_add_f64 v[42:43], v[42:43], -v[46:47]
	v_fma_f64 v[56:57], v[56:57], -0.5, v[58:59]
	v_fma_f64 v[48:49], v[44:45], s[8:9], v[56:57]
	v_fma_f64 v[48:49], v[40:41], s[14:15], v[48:49]
	;; [unrolled: 1-line block ×6, first 2 shown]
	v_add_f64 v[48:49], v[50:51], v[46:47]
	v_add_f64 v[50:51], v[54:55], -v[50:51]
	v_add_f64 v[46:47], v[128:129], v[120:121]
	v_fma_f64 v[48:49], v[48:49], -0.5, v[58:59]
	v_add_f64 v[42:43], v[50:51], v[42:43]
	v_mul_f64 v[58:59], v[126:127], s[8:9]
	v_fma_f64 v[52:53], v[40:41], s[4:5], v[48:49]
	v_fma_f64 v[40:41], v[40:41], s[8:9], v[48:49]
	;; [unrolled: 1-line block ×4, first 2 shown]
	v_add_f64 v[44:45], v[64:65], v[68:69]
	v_fma_f64 v[50:51], v[42:43], s[6:7], v[52:53]
	v_fma_f64 v[54:55], v[42:43], s[6:7], v[40:41]
	v_mul_f64 v[40:41], v[78:79], s[20:21]
	v_mul_f64 v[42:43], v[50:51], s[4:5]
	v_fma_f64 v[138:139], v[134:135], s[2:3], v[40:41]
	v_fma_f64 v[140:141], v[126:127], s[6:7], v[42:43]
	v_mul_f64 v[42:43], v[76:77], s[16:17]
	v_fma_f64 v[126:127], v[50:51], s[6:7], v[58:59]
	v_mul_f64 v[58:59], v[136:137], s[18:19]
	v_add_f64 v[40:41], v[66:67], v[138:139]
	v_add_f64 v[48:49], v[60:61], v[140:141]
	v_fma_f64 v[147:148], v[54:55], s[4:5], v[42:43]
	v_mul_f64 v[42:43], v[72:73], s[18:19]
	v_mul_f64 v[54:55], v[54:55], s[16:17]
	v_add_f64 v[50:51], v[122:123], v[126:127]
	v_add_f64 v[52:53], v[74:75], v[147:148]
	v_fma_f64 v[149:150], v[136:137], s[2:3], v[42:43]
	v_mul_f64 v[42:43], v[78:79], s[14:15]
	v_add_f64 v[78:79], v[128:129], -v[120:121]
	v_add_f64 v[120:121], v[116:117], v[108:109]
	v_fma_f64 v[151:152], v[76:77], s[8:9], v[54:55]
	v_fma_f64 v[136:137], v[72:73], s[14:15], v[58:59]
	v_add_f64 v[72:73], v[66:67], -v[138:139]
	v_add_f64 v[76:77], v[64:65], -v[68:69]
	;; [unrolled: 1-line block ×5, first 2 shown]
	v_add_f64 v[56:57], v[70:71], v[149:150]
	v_fma_f64 v[134:135], v[134:135], s[20:21], v[42:43]
	v_add_f64 v[60:61], v[70:71], -v[149:150]
	v_add_f64 v[120:121], v[120:121], v[112:113]
	v_add_f64 v[54:55], v[62:63], v[151:152]
	;; [unrolled: 1-line block ×3, first 2 shown]
	v_add_f64 v[66:67], v[62:63], -v[151:152]
	v_add_f64 v[62:63], v[124:125], -v[136:137]
	;; [unrolled: 1-line block ×5, first 2 shown]
	v_add_f64 v[42:43], v[132:133], v[134:135]
	v_add_f64 v[74:75], v[132:133], -v[134:135]
	v_add_f64 v[120:121], v[120:121], v[100:101]
	v_add_f64 v[132:133], v[114:115], -v[102:103]
	v_add_f64 v[134:135], v[104:105], -v[100:101]
	v_add_f64 v[124:125], v[120:121], v[104:105]
	v_add_f64 v[120:121], v[112:113], v[100:101]
	;; [unrolled: 1-line block ×3, first 2 shown]
	v_add_f64 v[134:135], v[112:113], -v[108:109]
	v_add_f64 v[100:101], v[112:113], -v[100:101]
	;; [unrolled: 1-line block ×3, first 2 shown]
	v_fma_f64 v[120:121], v[120:121], -0.5, v[116:117]
	v_add_f64 v[134:135], v[134:135], v[136:137]
	v_fma_f64 v[126:127], v[122:123], s[4:5], v[120:121]
	v_fma_f64 v[120:121], v[122:123], s[8:9], v[120:121]
	;; [unrolled: 1-line block ×6, first 2 shown]
	v_add_f64 v[120:121], v[108:109], v[104:105]
	v_add_f64 v[104:105], v[108:109], -v[104:105]
	v_fma_f64 v[116:117], v[120:121], -0.5, v[116:117]
	v_fma_f64 v[120:121], v[132:133], s[8:9], v[116:117]
	v_fma_f64 v[116:117], v[132:133], s[4:5], v[116:117]
	;; [unrolled: 1-line block ×6, first 2 shown]
	v_add_f64 v[116:117], v[118:119], v[110:111]
	v_add_f64 v[120:121], v[106:107], -v[102:103]
	v_add_f64 v[116:117], v[116:117], v[114:115]
	v_add_f64 v[112:113], v[112:113], v[120:121]
	;; [unrolled: 1-line block ×5, first 2 shown]
	v_add_f64 v[102:103], v[102:103], -v[106:107]
	v_fma_f64 v[116:117], v[116:117], -0.5, v[118:119]
	v_fma_f64 v[108:109], v[104:105], s[8:9], v[116:117]
	v_fma_f64 v[108:109], v[100:101], s[14:15], v[108:109]
	;; [unrolled: 1-line block ×4, first 2 shown]
	v_add_f64 v[116:117], v[84:85], -v[80:81]
	v_fma_f64 v[108:109], v[100:101], s[2:3], v[108:109]
	v_fma_f64 v[120:121], v[112:113], s[6:7], v[108:109]
	v_add_f64 v[108:109], v[110:111], v[106:107]
	v_add_f64 v[110:111], v[114:115], -v[110:111]
	v_add_f64 v[114:115], v[88:89], -v[92:93]
	v_fma_f64 v[108:109], v[108:109], -0.5, v[118:119]
	v_add_f64 v[102:103], v[110:111], v[102:103]
	v_add_f64 v[114:115], v[114:115], v[116:117]
	v_add_f64 v[116:117], v[92:93], -v[88:89]
	v_add_f64 v[118:119], v[80:81], -v[84:85]
	v_fma_f64 v[112:113], v[100:101], s[4:5], v[108:109]
	v_fma_f64 v[100:101], v[100:101], s[8:9], v[108:109]
	v_add_f64 v[108:109], v[90:91], -v[86:87]
	v_add_f64 v[116:117], v[116:117], v[118:119]
	v_fma_f64 v[112:113], v[104:105], s[14:15], v[112:113]
	v_fma_f64 v[100:101], v[104:105], s[2:3], v[100:101]
	v_add_f64 v[104:105], v[92:93], v[80:81]
	v_fma_f64 v[106:107], v[102:103], s[6:7], v[112:113]
	v_add_f64 v[112:113], v[94:95], -v[82:83]
	v_fma_f64 v[104:105], v[104:105], -0.5, v[96:97]
	v_fma_f64 v[102:103], v[102:103], s[6:7], v[100:101]
	v_add_f64 v[100:101], v[96:97], v[88:89]
	v_fma_f64 v[110:111], v[108:109], s[4:5], v[104:105]
	v_fma_f64 v[104:105], v[108:109], s[8:9], v[104:105]
	v_add_f64 v[100:101], v[100:101], v[92:93]
	v_fma_f64 v[110:111], v[112:113], s[2:3], v[110:111]
	v_fma_f64 v[104:105], v[112:113], s[14:15], v[104:105]
	v_add_f64 v[100:101], v[100:101], v[80:81]
	v_add_f64 v[80:81], v[92:93], -v[80:81]
	v_add_f64 v[92:93], v[90:91], -v[94:95]
	v_fma_f64 v[110:111], v[114:115], s[6:7], v[110:111]
	v_fma_f64 v[104:105], v[114:115], s[6:7], v[104:105]
	v_add_f64 v[114:115], v[88:89], v[84:85]
	v_add_f64 v[100:101], v[100:101], v[84:85]
	v_add_f64 v[84:85], v[88:89], -v[84:85]
	v_fma_f64 v[96:97], v[114:115], -0.5, v[96:97]
	v_fma_f64 v[114:115], v[112:113], s[8:9], v[96:97]
	v_fma_f64 v[96:97], v[112:113], s[4:5], v[96:97]
	v_add_f64 v[112:113], v[86:87], -v[82:83]
	v_fma_f64 v[114:115], v[108:109], s[2:3], v[114:115]
	v_fma_f64 v[96:97], v[108:109], s[14:15], v[96:97]
	v_add_f64 v[92:93], v[92:93], v[112:113]
	v_fma_f64 v[114:115], v[116:117], s[6:7], v[114:115]
	v_fma_f64 v[108:109], v[116:117], s[6:7], v[96:97]
	v_add_f64 v[96:97], v[98:99], v[90:91]
	v_add_f64 v[96:97], v[96:97], v[94:95]
	;; [unrolled: 1-line block ×5, first 2 shown]
	v_add_f64 v[82:83], v[82:83], -v[86:87]
	v_fma_f64 v[96:97], v[96:97], -0.5, v[98:99]
	v_fma_f64 v[88:89], v[84:85], s[8:9], v[96:97]
	v_fma_f64 v[88:89], v[80:81], s[14:15], v[88:89]
	;; [unrolled: 1-line block ×4, first 2 shown]
	v_add_f64 v[96:97], v[124:125], v[100:101]
	v_fma_f64 v[88:89], v[80:81], s[2:3], v[88:89]
	v_fma_f64 v[116:117], v[92:93], s[6:7], v[88:89]
	v_add_f64 v[88:89], v[90:91], v[86:87]
	v_add_f64 v[90:91], v[94:95], -v[90:91]
	v_fma_f64 v[88:89], v[88:89], -0.5, v[98:99]
	v_add_f64 v[82:83], v[90:91], v[82:83]
	v_mul_f64 v[90:91], v[110:111], s[14:15]
	v_add_f64 v[98:99], v[134:135], v[118:119]
	v_add_f64 v[118:119], v[134:135], -v[118:119]
	v_add_f64 v[134:135], v[24:25], -v[20:21]
	v_fma_f64 v[92:93], v[80:81], s[4:5], v[88:89]
	v_fma_f64 v[80:81], v[80:81], s[8:9], v[88:89]
	;; [unrolled: 1-line block ×3, first 2 shown]
	v_mul_f64 v[90:91], v[114:115], s[8:9]
	v_fma_f64 v[92:93], v[84:85], s[14:15], v[92:93]
	v_fma_f64 v[80:81], v[84:85], s[2:3], v[80:81]
	v_add_f64 v[94:95], v[122:123], v[155:156]
	v_fma_f64 v[86:87], v[82:83], s[6:7], v[92:93]
	v_fma_f64 v[82:83], v[82:83], s[6:7], v[80:81]
	v_mul_f64 v[80:81], v[110:111], s[20:21]
	v_fma_f64 v[110:111], v[86:87], s[6:7], v[90:91]
	v_fma_f64 v[147:148], v[112:113], s[2:3], v[80:81]
	v_mul_f64 v[80:81], v[86:87], s[4:5]
	v_add_f64 v[90:91], v[106:107], v[110:111]
	v_add_f64 v[110:111], v[106:107], -v[110:111]
	v_add_f64 v[92:93], v[126:127], v[147:148]
	v_fma_f64 v[149:150], v[114:115], s[6:7], v[80:81]
	v_mul_f64 v[80:81], v[108:109], s[16:17]
	v_add_f64 v[114:115], v[122:123], -v[155:156]
	v_add_f64 v[122:123], v[32:33], v[20:21]
	v_add_f64 v[112:113], v[126:127], -v[147:148]
	v_add_f64 v[126:127], v[30:31], -v[26:27]
	v_add_f64 v[88:89], v[140:141], v[149:150]
	v_fma_f64 v[151:152], v[82:83], s[4:5], v[80:81]
	v_mul_f64 v[80:81], v[104:105], s[18:19]
	v_mul_f64 v[82:83], v[82:83], s[16:17]
	v_add_f64 v[84:85], v[132:133], v[151:152]
	v_fma_f64 v[153:154], v[116:117], s[2:3], v[80:81]
	v_fma_f64 v[136:137], v[108:109], s[8:9], v[82:83]
	v_mul_f64 v[82:83], v[116:117], s[18:19]
	v_add_f64 v[116:117], v[124:125], -v[100:101]
	v_fma_f64 v[124:125], v[122:123], -0.5, v[36:37]
	v_add_f64 v[108:109], v[140:141], -v[149:150]
	v_add_f64 v[80:81], v[128:129], v[153:154]
	v_add_f64 v[100:101], v[128:129], -v[153:154]
	v_fma_f64 v[138:139], v[104:105], s[14:15], v[82:83]
	v_add_f64 v[104:105], v[132:133], -v[151:152]
	v_fma_f64 v[122:123], v[126:127], s[4:5], v[124:125]
	v_add_f64 v[128:129], v[34:35], -v[22:23]
	v_add_f64 v[132:133], v[28:29], -v[32:33]
	v_fma_f64 v[124:125], v[126:127], s[8:9], v[124:125]
	v_add_f64 v[86:87], v[102:103], v[136:137]
	v_add_f64 v[106:107], v[102:103], -v[136:137]
	v_add_f64 v[136:137], v[20:21], -v[24:25]
	v_add_f64 v[82:83], v[120:121], v[138:139]
	v_add_f64 v[102:103], v[120:121], -v[138:139]
	v_add_f64 v[120:121], v[36:37], v[28:29]
	v_fma_f64 v[122:123], v[128:129], s[2:3], v[122:123]
	v_add_f64 v[132:133], v[132:133], v[134:135]
	v_fma_f64 v[124:125], v[128:129], s[14:15], v[124:125]
	v_add_f64 v[134:135], v[32:33], -v[28:29]
	v_add_f64 v[120:121], v[120:121], v[32:33]
	v_add_f64 v[32:33], v[32:33], -v[20:21]
	v_fma_f64 v[122:123], v[132:133], s[6:7], v[122:123]
	v_fma_f64 v[124:125], v[132:133], s[6:7], v[124:125]
	v_add_f64 v[132:133], v[28:29], v[24:25]
	v_add_f64 v[28:29], v[28:29], -v[24:25]
	v_add_f64 v[134:135], v[134:135], v[136:137]
	v_add_f64 v[136:137], v[0:1], -v[4:5]
	v_add_f64 v[120:121], v[120:121], v[20:21]
	v_fma_f64 v[132:133], v[132:133], -0.5, v[36:37]
	v_add_f64 v[120:121], v[120:121], v[24:25]
	v_fma_f64 v[36:37], v[128:129], s[8:9], v[132:133]
	v_fma_f64 v[128:129], v[128:129], s[4:5], v[132:133]
	v_add_f64 v[132:133], v[34:35], v[22:23]
	v_fma_f64 v[36:37], v[126:127], s[2:3], v[36:37]
	v_fma_f64 v[126:127], v[126:127], s[14:15], v[128:129]
	v_fma_f64 v[132:133], v[132:133], -0.5, v[38:39]
	v_add_f64 v[128:129], v[38:39], v[30:31]
	v_fma_f64 v[36:37], v[134:135], s[6:7], v[36:37]
	v_fma_f64 v[126:127], v[134:135], s[6:7], v[126:127]
	;; [unrolled: 1-line block ×3, first 2 shown]
	v_add_f64 v[134:135], v[26:27], -v[22:23]
	v_add_f64 v[128:129], v[128:129], v[34:35]
	v_fma_f64 v[20:21], v[32:33], s[14:15], v[24:25]
	v_add_f64 v[24:25], v[30:31], -v[34:35]
	v_add_f64 v[128:129], v[128:129], v[22:23]
	v_add_f64 v[22:23], v[22:23], -v[26:27]
	v_add_f64 v[134:135], v[24:25], v[134:135]
	v_add_f64 v[128:129], v[128:129], v[26:27]
	v_fma_f64 v[24:25], v[134:135], s[6:7], v[20:21]
	v_fma_f64 v[20:21], v[28:29], s[4:5], v[132:133]
	v_add_f64 v[132:133], v[30:31], v[26:27]
	v_add_f64 v[30:31], v[34:35], -v[30:31]
	v_fma_f64 v[20:21], v[32:33], s[2:3], v[20:21]
	v_fma_f64 v[38:39], v[132:133], -0.5, v[38:39]
	v_add_f64 v[22:23], v[30:31], v[22:23]
	v_fma_f64 v[20:21], v[134:135], s[6:7], v[20:21]
	v_fma_f64 v[132:133], v[32:33], s[4:5], v[38:39]
	;; [unrolled: 1-line block ×3, first 2 shown]
	v_add_f64 v[32:33], v[10:11], -v[6:7]
	v_add_f64 v[38:39], v[14:15], -v[2:3]
	;; [unrolled: 1-line block ×3, first 2 shown]
	v_fma_f64 v[132:133], v[28:29], s[14:15], v[132:133]
	v_fma_f64 v[28:29], v[28:29], s[2:3], v[30:31]
	v_add_f64 v[30:31], v[12:13], v[0:1]
	v_fma_f64 v[26:27], v[22:23], s[6:7], v[132:133]
	v_add_f64 v[132:133], v[8:9], -v[12:13]
	v_fma_f64 v[30:31], v[30:31], -0.5, v[16:17]
	v_fma_f64 v[22:23], v[22:23], s[6:7], v[28:29]
	v_add_f64 v[28:29], v[16:17], v[8:9]
	v_add_f64 v[132:133], v[132:133], v[134:135]
	v_fma_f64 v[34:35], v[32:33], s[4:5], v[30:31]
	v_fma_f64 v[30:31], v[32:33], s[8:9], v[30:31]
	v_add_f64 v[134:135], v[12:13], -v[8:9]
	v_add_f64 v[28:29], v[28:29], v[12:13]
	v_fma_f64 v[34:35], v[38:39], s[2:3], v[34:35]
	v_fma_f64 v[30:31], v[38:39], s[14:15], v[30:31]
	v_add_f64 v[134:135], v[134:135], v[136:137]
	v_add_f64 v[28:29], v[28:29], v[0:1]
	v_add_f64 v[0:1], v[12:13], -v[0:1]
	v_add_f64 v[12:13], v[10:11], -v[14:15]
	v_fma_f64 v[34:35], v[132:133], s[6:7], v[34:35]
	v_fma_f64 v[30:31], v[132:133], s[6:7], v[30:31]
	v_add_f64 v[132:133], v[8:9], v[4:5]
	v_add_f64 v[28:29], v[28:29], v[4:5]
	v_add_f64 v[4:5], v[8:9], -v[4:5]
	v_fma_f64 v[16:17], v[132:133], -0.5, v[16:17]
	v_fma_f64 v[132:133], v[38:39], s[8:9], v[16:17]
	v_fma_f64 v[16:17], v[38:39], s[4:5], v[16:17]
	;; [unrolled: 1-line block ×6, first 2 shown]
	v_add_f64 v[16:17], v[18:19], v[10:11]
	v_add_f64 v[134:135], v[6:7], -v[2:3]
	v_add_f64 v[16:17], v[16:17], v[14:15]
	v_add_f64 v[12:13], v[12:13], v[134:135]
	;; [unrolled: 1-line block ×5, first 2 shown]
	v_add_f64 v[2:3], v[2:3], -v[6:7]
	v_fma_f64 v[16:17], v[16:17], -0.5, v[18:19]
	v_fma_f64 v[8:9], v[4:5], s[8:9], v[16:17]
	v_fma_f64 v[8:9], v[0:1], s[14:15], v[8:9]
	;; [unrolled: 1-line block ×6, first 2 shown]
	v_add_f64 v[8:9], v[10:11], v[6:7]
	v_add_f64 v[10:11], v[14:15], -v[10:11]
	v_mul_f64 v[6:7], v[34:35], s[14:15]
	v_fma_f64 v[8:9], v[8:9], -0.5, v[18:19]
	v_add_f64 v[2:3], v[10:11], v[2:3]
	v_mul_f64 v[18:19], v[132:133], s[8:9]
	v_fma_f64 v[12:13], v[0:1], s[4:5], v[8:9]
	v_fma_f64 v[0:1], v[0:1], s[8:9], v[8:9]
	v_fma_f64 v[12:13], v[4:5], s[14:15], v[12:13]
	v_fma_f64 v[0:1], v[4:5], s[2:3], v[0:1]
	v_fma_f64 v[10:11], v[2:3], s[6:7], v[12:13]
	v_fma_f64 v[14:15], v[2:3], s[6:7], v[0:1]
	v_mul_f64 v[2:3], v[34:35], s[20:21]
	v_add_f64 v[0:1], v[120:121], v[28:29]
	v_add_f64 v[28:29], v[120:121], -v[28:29]
	v_fma_f64 v[34:35], v[134:135], s[20:21], v[6:7]
	v_fma_f64 v[138:139], v[134:135], s[2:3], v[2:3]
	v_mul_f64 v[2:3], v[10:11], s[4:5]
	v_add_f64 v[6:7], v[24:25], v[34:35]
	v_add_f64 v[34:35], v[24:25], -v[34:35]
	v_add_f64 v[4:5], v[122:123], v[138:139]
	v_fma_f64 v[140:141], v[132:133], s[6:7], v[2:3]
	v_mul_f64 v[2:3], v[32:33], s[16:17]
	v_fma_f64 v[132:133], v[10:11], s[6:7], v[18:19]
	v_mul_f64 v[18:19], v[136:137], s[18:19]
	v_add_f64 v[8:9], v[36:37], v[140:141]
	v_fma_f64 v[147:148], v[14:15], s[4:5], v[2:3]
	v_mul_f64 v[2:3], v[30:31], s[18:19]
	v_mul_f64 v[14:15], v[14:15], s[16:17]
	v_add_f64 v[10:11], v[26:27], v[132:133]
	v_add_f64 v[36:37], v[36:37], -v[140:141]
	v_add_f64 v[12:13], v[126:127], v[147:148]
	v_fma_f64 v[149:150], v[136:137], s[2:3], v[2:3]
	v_fma_f64 v[136:137], v[30:31], s[14:15], v[18:19]
	v_add_f64 v[120:121], v[126:127], -v[147:148]
	v_fma_f64 v[134:135], v[32:33], s[8:9], v[14:15]
	v_add_f64 v[2:3], v[128:129], v[38:39]
	v_add_f64 v[30:31], v[128:129], -v[38:39]
	v_add_f64 v[32:33], v[122:123], -v[138:139]
	;; [unrolled: 1-line block ×3, first 2 shown]
	v_add_f64 v[16:17], v[124:125], v[149:150]
	v_add_f64 v[18:19], v[20:21], v[136:137]
	v_add_f64 v[126:127], v[20:21], -v[136:137]
	v_mul_lo_u16 v20, v165, 10
	v_add_f64 v[14:15], v[22:23], v[134:135]
	v_add_f64 v[122:123], v[22:23], -v[134:135]
	v_add_f64 v[124:125], v[124:125], -v[149:150]
	v_lshlrev_b32_sdwa v163, v169, v20 dst_sel:DWORD dst_unused:UNUSED_PAD src0_sel:DWORD src1_sel:WORD_0
	v_mul_u32_u24_e32 v20, 10, v166
	ds_write_b128 v163, v[44:47]
	ds_write_b128 v163, v[40:43] offset:16
	ds_write_b128 v163, v[48:51] offset:32
	;; [unrolled: 1-line block ×9, first 2 shown]
	v_lshlrev_b32_e32 v164, 4, v20
	ds_write_b128 v164, v[96:99]
	ds_write_b128 v164, v[92:95] offset:16
	ds_write_b128 v164, v[88:91] offset:32
	;; [unrolled: 1-line block ×9, first 2 shown]
	v_mul_lo_u16 v112, 0xcd, v171
	v_mul_u32_u24_e32 v20, 10, v167
	v_lshrrev_b16 v172, 11, v112
	v_lshlrev_b32_e32 v175, 4, v20
	ds_write_b128 v175, v[0:3]
	ds_write_b128 v175, v[4:7] offset:16
	ds_write_b128 v175, v[8:11] offset:32
	ds_write_b128 v175, v[12:15] offset:48
	ds_write_b128 v175, v[16:19] offset:64
	ds_write_b128 v175, v[28:31] offset:80
	ds_write_b128 v175, v[32:35] offset:96
	ds_write_b128 v175, v[36:39] offset:112
	ds_write_b128 v175, v[120:123] offset:128
	ds_write_b128 v175, v[124:127] offset:144
	v_mul_lo_u16 v112, v172, 10
	s_waitcnt lgkmcnt(0)
	s_barrier
	buffer_gl0_inv
	ds_read_b128 v[36:39], v130
	ds_read_b128 v[114:117], v130 offset:16000
	ds_read_b128 v[120:123], v130 offset:32000
	;; [unrolled: 1-line block ×29, first 2 shown]
	v_sub_nc_u16 v112, v165, v112
	v_and_b32_e32 v173, 0xff, v112
	v_lshlrev_b32_e32 v112, 5, v173
	s_clause 0x1
	global_load_dwordx4 v[124:127], v112, s[10:11] offset:16
	global_load_dwordx4 v[132:135], v112, s[10:11]
	s_waitcnt vmcnt(0)
	buffer_store_dword v132, off, s[28:31], 0 offset:508 ; 4-byte Folded Spill
	buffer_store_dword v133, off, s[28:31], 0 offset:512 ; 4-byte Folded Spill
	buffer_store_dword v134, off, s[28:31], 0 offset:516 ; 4-byte Folded Spill
	buffer_store_dword v135, off, s[28:31], 0 offset:520 ; 4-byte Folded Spill
	buffer_store_dword v124, off, s[28:31], 0 offset:492 ; 4-byte Folded Spill
	buffer_store_dword v125, off, s[28:31], 0 offset:496 ; 4-byte Folded Spill
	buffer_store_dword v126, off, s[28:31], 0 offset:500 ; 4-byte Folded Spill
	buffer_store_dword v127, off, s[28:31], 0 offset:504 ; 4-byte Folded Spill
	s_waitcnt lgkmcnt(28)
	v_mul_f64 v[112:113], v[116:117], v[134:135]
	v_fma_f64 v[112:113], v[114:115], v[132:133], -v[112:113]
	v_mul_f64 v[114:115], v[114:115], v[134:135]
	v_fma_f64 v[118:119], v[116:117], v[132:133], v[114:115]
	s_waitcnt lgkmcnt(27)
	v_mul_f64 v[114:115], v[122:123], v[126:127]
	v_mul_f64 v[116:117], v[120:121], v[126:127]
	v_fma_f64 v[114:115], v[120:121], v[124:125], -v[114:115]
	v_fma_f64 v[120:121], v[122:123], v[124:125], v[116:117]
	v_mul_lo_u16 v116, 0xcd, v170
	v_lshrrev_b16 v174, 11, v116
	v_mul_lo_u16 v116, v174, 10
	v_sub_nc_u16 v116, v166, v116
	v_and_b32_e32 v176, 0xff, v116
	v_lshlrev_b32_e32 v116, 5, v176
	s_clause 0x1
	global_load_dwordx4 v[122:125], v116, s[10:11] offset:16
	global_load_dwordx4 v[126:129], v116, s[10:11]
	s_waitcnt vmcnt(0)
	buffer_store_dword v126, off, s[28:31], 0 offset:540 ; 4-byte Folded Spill
	buffer_store_dword v127, off, s[28:31], 0 offset:544 ; 4-byte Folded Spill
	;; [unrolled: 1-line block ×8, first 2 shown]
	s_waitcnt lgkmcnt(25)
	v_mul_f64 v[116:117], v[110:111], v[128:129]
	v_fma_f64 v[116:117], v[108:109], v[126:127], -v[116:117]
	v_mul_f64 v[108:109], v[108:109], v[128:129]
	v_fma_f64 v[110:111], v[110:111], v[126:127], v[108:109]
	s_waitcnt lgkmcnt(24)
	v_mul_f64 v[108:109], v[106:107], v[124:125]
	v_fma_f64 v[108:109], v[104:105], v[122:123], -v[108:109]
	v_mul_f64 v[104:105], v[104:105], v[124:125]
	v_mov_b32_e32 v124, 0xcccd
	v_fma_f64 v[106:107], v[106:107], v[122:123], v[104:105]
	v_mul_u32_u24_sdwa v104, v167, v124 dst_sel:DWORD dst_unused:UNUSED_PAD src0_sel:WORD_0 src1_sel:DWORD
	v_lshrrev_b32_e32 v177, 19, v104
	v_mul_lo_u16 v104, v177, 10
	v_sub_nc_u16 v178, v167, v104
	v_lshlrev_b16 v104, 1, v178
	v_lshlrev_b32_sdwa v104, v169, v104 dst_sel:DWORD dst_unused:UNUSED_PAD src0_sel:DWORD src1_sel:WORD_0
	s_clause 0x1
	global_load_dwordx4 v[125:128], v104, s[10:11] offset:16
	global_load_dwordx4 v[132:135], v104, s[10:11]
	s_waitcnt vmcnt(0)
	buffer_store_dword v132, off, s[28:31], 0 offset:572 ; 4-byte Folded Spill
	buffer_store_dword v133, off, s[28:31], 0 offset:576 ; 4-byte Folded Spill
	buffer_store_dword v134, off, s[28:31], 0 offset:580 ; 4-byte Folded Spill
	buffer_store_dword v135, off, s[28:31], 0 offset:584 ; 4-byte Folded Spill
	buffer_store_dword v125, off, s[28:31], 0 offset:556 ; 4-byte Folded Spill
	buffer_store_dword v126, off, s[28:31], 0 offset:560 ; 4-byte Folded Spill
	buffer_store_dword v127, off, s[28:31], 0 offset:564 ; 4-byte Folded Spill
	buffer_store_dword v128, off, s[28:31], 0 offset:568 ; 4-byte Folded Spill
	s_waitcnt lgkmcnt(22)
	v_mul_f64 v[104:105], v[102:103], v[134:135]
	v_fma_f64 v[104:105], v[100:101], v[132:133], -v[104:105]
	v_mul_f64 v[100:101], v[100:101], v[134:135]
	v_fma_f64 v[102:103], v[102:103], v[132:133], v[100:101]
	s_waitcnt lgkmcnt(21)
	v_mul_f64 v[100:101], v[98:99], v[127:128]
	v_fma_f64 v[100:101], v[96:97], v[125:126], -v[100:101]
	v_mul_f64 v[96:97], v[96:97], v[127:128]
	v_fma_f64 v[98:99], v[98:99], v[125:126], v[96:97]
	v_mul_u32_u24_sdwa v96, v143, v124 dst_sel:DWORD dst_unused:UNUSED_PAD src0_sel:WORD_0 src1_sel:DWORD
	v_lshrrev_b32_e32 v179, 19, v96
	v_mul_lo_u16 v96, v179, 10
	v_sub_nc_u16 v180, v143, v96
	v_lshlrev_b16 v96, 1, v180
	v_lshlrev_b32_sdwa v96, v169, v96 dst_sel:DWORD dst_unused:UNUSED_PAD src0_sel:DWORD src1_sel:WORD_0
	s_clause 0x1
	global_load_dwordx4 v[125:128], v96, s[10:11] offset:16
	global_load_dwordx4 v[132:135], v96, s[10:11]
	s_waitcnt vmcnt(0)
	buffer_store_dword v132, off, s[28:31], 0 offset:604 ; 4-byte Folded Spill
	buffer_store_dword v133, off, s[28:31], 0 offset:608 ; 4-byte Folded Spill
	buffer_store_dword v134, off, s[28:31], 0 offset:612 ; 4-byte Folded Spill
	buffer_store_dword v135, off, s[28:31], 0 offset:616 ; 4-byte Folded Spill
	buffer_store_dword v125, off, s[28:31], 0 offset:588 ; 4-byte Folded Spill
	buffer_store_dword v126, off, s[28:31], 0 offset:592 ; 4-byte Folded Spill
	buffer_store_dword v127, off, s[28:31], 0 offset:596 ; 4-byte Folded Spill
	buffer_store_dword v128, off, s[28:31], 0 offset:600 ; 4-byte Folded Spill
	s_waitcnt lgkmcnt(19)
	v_mul_f64 v[96:97], v[94:95], v[134:135]
	v_fma_f64 v[96:97], v[92:93], v[132:133], -v[96:97]
	v_mul_f64 v[92:93], v[92:93], v[134:135]
	v_fma_f64 v[94:95], v[94:95], v[132:133], v[92:93]
	s_waitcnt lgkmcnt(18)
	v_mul_f64 v[92:93], v[90:91], v[127:128]
	v_fma_f64 v[92:93], v[88:89], v[125:126], -v[92:93]
	v_mul_f64 v[88:89], v[88:89], v[127:128]
	;; [unrolled: 28-line block ×3, first 2 shown]
	v_fma_f64 v[122:123], v[82:83], v[125:126], v[80:81]
	v_mul_u32_u24_sdwa v80, v146, v124 dst_sel:DWORD dst_unused:UNUSED_PAD src0_sel:WORD_0 src1_sel:DWORD
	v_lshrrev_b32_e32 v183, 19, v80
	v_mul_lo_u16 v80, v183, 10
	v_sub_nc_u16 v184, v146, v80
	v_lshlrev_b16 v80, 1, v184
	v_lshlrev_b32_sdwa v80, v169, v80 dst_sel:DWORD dst_unused:UNUSED_PAD src0_sel:DWORD src1_sel:WORD_0
	s_clause 0x1
	global_load_dwordx4 v[125:128], v80, s[10:11] offset:16
	global_load_dwordx4 v[132:135], v80, s[10:11]
	s_waitcnt vmcnt(0) lgkmcnt(13)
	v_mul_f64 v[80:81], v[78:79], v[134:135]
	v_fma_f64 v[150:151], v[76:77], v[132:133], -v[80:81]
	buffer_store_dword v132, off, s[28:31], 0 offset:752 ; 4-byte Folded Spill
	buffer_store_dword v133, off, s[28:31], 0 offset:756 ; 4-byte Folded Spill
	;; [unrolled: 1-line block ×8, first 2 shown]
	v_mul_f64 v[76:77], v[76:77], v[134:135]
	v_fma_f64 v[156:157], v[78:79], v[132:133], v[76:77]
	s_waitcnt lgkmcnt(12)
	v_mul_f64 v[76:77], v[74:75], v[127:128]
	v_fma_f64 v[154:155], v[72:73], v[125:126], -v[76:77]
	v_mul_f64 v[72:73], v[72:73], v[127:128]
	v_fma_f64 v[158:159], v[74:75], v[125:126], v[72:73]
	v_mul_u32_u24_sdwa v72, v142, v124 dst_sel:DWORD dst_unused:UNUSED_PAD src0_sel:WORD_0 src1_sel:DWORD
	v_lshrrev_b32_e32 v185, 19, v72
	v_mul_lo_u16 v72, v185, 10
	v_sub_nc_u16 v186, v142, v72
	v_lshlrev_b16 v72, 1, v186
	v_lshlrev_b32_sdwa v72, v169, v72 dst_sel:DWORD dst_unused:UNUSED_PAD src0_sel:DWORD src1_sel:WORD_0
	s_clause 0x1
	global_load_dwordx4 v[74:77], v72, s[10:11] offset:16
	global_load_dwordx4 v[78:81], v72, s[10:11]
	s_waitcnt vmcnt(0)
	buffer_store_dword v78, off, s[28:31], 0 offset:852 ; 4-byte Folded Spill
	buffer_store_dword v79, off, s[28:31], 0 offset:856 ; 4-byte Folded Spill
	buffer_store_dword v80, off, s[28:31], 0 offset:860 ; 4-byte Folded Spill
	buffer_store_dword v81, off, s[28:31], 0 offset:864 ; 4-byte Folded Spill
	buffer_store_dword v74, off, s[28:31], 0 offset:868 ; 4-byte Folded Spill
	buffer_store_dword v75, off, s[28:31], 0 offset:872 ; 4-byte Folded Spill
	buffer_store_dword v76, off, s[28:31], 0 offset:876 ; 4-byte Folded Spill
	buffer_store_dword v77, off, s[28:31], 0 offset:880 ; 4-byte Folded Spill
	s_waitcnt lgkmcnt(10)
	v_mul_f64 v[72:73], v[70:71], v[80:81]
	v_fma_f64 v[142:143], v[68:69], v[78:79], -v[72:73]
	v_mul_f64 v[68:69], v[68:69], v[80:81]
	v_fma_f64 v[148:149], v[70:71], v[78:79], v[68:69]
	s_waitcnt lgkmcnt(9)
	v_mul_f64 v[68:69], v[66:67], v[76:77]
	v_add_f64 v[78:79], v[86:87], v[122:123]
	v_fma_f64 v[146:147], v[64:65], v[74:75], -v[68:69]
	v_mul_f64 v[64:65], v[64:65], v[76:77]
	v_fma_f64 v[152:153], v[66:67], v[74:75], v[64:65]
	v_mul_u32_u24_sdwa v64, v144, v124 dst_sel:DWORD dst_unused:UNUSED_PAD src0_sel:WORD_0 src1_sel:DWORD
	v_add_f64 v[74:75], v[88:89], v[84:85]
	v_lshrrev_b32_e32 v187, 19, v64
	v_mul_lo_u16 v64, v187, 10
	v_sub_nc_u16 v188, v144, v64
	v_lshlrev_b16 v64, 1, v188
	v_lshlrev_b32_sdwa v64, v169, v64 dst_sel:DWORD dst_unused:UNUSED_PAD src0_sel:DWORD src1_sel:WORD_0
	s_clause 0x1
	global_load_dwordx4 v[66:69], v64, s[10:11] offset:16
	global_load_dwordx4 v[70:73], v64, s[10:11]
	s_waitcnt vmcnt(0) lgkmcnt(7)
	v_mul_f64 v[64:65], v[62:63], v[72:73]
	v_fma_f64 v[134:135], v[60:61], v[70:71], -v[64:65]
	buffer_store_dword v70, off, s[28:31], 0 offset:884 ; 4-byte Folded Spill
	buffer_store_dword v71, off, s[28:31], 0 offset:888 ; 4-byte Folded Spill
	buffer_store_dword v72, off, s[28:31], 0 offset:892 ; 4-byte Folded Spill
	buffer_store_dword v73, off, s[28:31], 0 offset:896 ; 4-byte Folded Spill
	buffer_store_dword v66, off, s[28:31], 0 offset:904 ; 4-byte Folded Spill
	buffer_store_dword v67, off, s[28:31], 0 offset:908 ; 4-byte Folded Spill
	buffer_store_dword v68, off, s[28:31], 0 offset:912 ; 4-byte Folded Spill
	buffer_store_dword v69, off, s[28:31], 0 offset:916 ; 4-byte Folded Spill
	v_mul_f64 v[60:61], v[60:61], v[72:73]
	v_add_f64 v[72:73], v[96:97], -v[92:93]
	v_fma_f64 v[140:141], v[62:63], v[70:71], v[60:61]
	s_waitcnt lgkmcnt(6)
	v_mul_f64 v[60:61], v[58:59], v[68:69]
	v_add_f64 v[70:71], v[94:95], v[90:91]
	v_fma_f64 v[138:139], v[56:57], v[66:67], -v[60:61]
	v_mul_f64 v[56:57], v[56:57], v[68:69]
	v_fma_f64 v[144:145], v[58:59], v[66:67], v[56:57]
	v_mul_u32_u24_sdwa v56, v160, v124 dst_sel:DWORD dst_unused:UNUSED_PAD src0_sel:WORD_0 src1_sel:DWORD
	v_add_f64 v[66:67], v[96:97], v[92:93]
	v_lshrrev_b32_e32 v189, 19, v56
	v_mul_lo_u16 v56, v189, 10
	v_sub_nc_u16 v190, v160, v56
	v_lshlrev_b16 v56, 1, v190
	v_lshlrev_b32_sdwa v56, v169, v56 dst_sel:DWORD dst_unused:UNUSED_PAD src0_sel:DWORD src1_sel:WORD_0
	s_clause 0x1
	global_load_dwordx4 v[58:61], v56, s[10:11] offset:16
	global_load_dwordx4 v[62:65], v56, s[10:11]
	s_waitcnt vmcnt(0)
	buffer_store_dword v62, off, s[28:31], 0 offset:984 ; 4-byte Folded Spill
	buffer_store_dword v63, off, s[28:31], 0 offset:988 ; 4-byte Folded Spill
	;; [unrolled: 1-line block ×8, first 2 shown]
	s_waitcnt lgkmcnt(4)
	v_mul_f64 v[56:57], v[54:55], v[64:65]
	v_fma_f64 v[126:127], v[52:53], v[62:63], -v[56:57]
	v_mul_f64 v[52:53], v[52:53], v[64:65]
	v_add_f64 v[64:65], v[104:105], -v[100:101]
	v_fma_f64 v[132:133], v[54:55], v[62:63], v[52:53]
	s_waitcnt lgkmcnt(3)
	v_mul_f64 v[52:53], v[50:51], v[60:61]
	v_add_f64 v[62:63], v[102:103], v[98:99]
	v_fma_f64 v[160:161], v[48:49], v[58:59], -v[52:53]
	v_mul_f64 v[48:49], v[48:49], v[60:61]
	v_fma_f64 v[136:137], v[50:51], v[58:59], v[48:49]
	v_mul_u32_u24_sdwa v48, v168, v124 dst_sel:DWORD dst_unused:UNUSED_PAD src0_sel:WORD_0 src1_sel:DWORD
	v_add_f64 v[58:59], v[104:105], v[100:101]
	v_lshrrev_b32_e32 v191, 19, v48
	v_mul_lo_u16 v48, v191, 10
	v_sub_nc_u16 v168, v168, v48
	v_lshlrev_b16 v48, 1, v168
	v_lshlrev_b32_sdwa v48, v169, v48 dst_sel:DWORD dst_unused:UNUSED_PAD src0_sel:DWORD src1_sel:WORD_0
	s_clause 0x1
	global_load_dwordx4 v[50:53], v48, s[10:11] offset:16
	global_load_dwordx4 v[54:57], v48, s[10:11]
	s_waitcnt vmcnt(0)
	buffer_store_dword v54, off, s[28:31], 0 offset:1020 ; 4-byte Folded Spill
	buffer_store_dword v55, off, s[28:31], 0 offset:1024 ; 4-byte Folded Spill
	;; [unrolled: 1-line block ×8, first 2 shown]
	s_waitcnt lgkmcnt(0)
	s_waitcnt_vscnt null, 0x0
	s_barrier
	buffer_gl0_inv
	v_mul_f64 v[48:49], v[46:47], v[56:57]
	v_fma_f64 v[80:81], v[44:45], v[54:55], -v[48:49]
	v_mul_f64 v[44:45], v[44:45], v[56:57]
	v_add_f64 v[48:49], v[112:113], -v[114:115]
	v_add_f64 v[56:57], v[116:117], -v[108:109]
	v_fma_f64 v[124:125], v[46:47], v[54:55], v[44:45]
	v_mul_f64 v[44:45], v[42:43], v[52:53]
	v_add_f64 v[46:47], v[118:119], v[120:121]
	v_add_f64 v[54:55], v[110:111], v[106:107]
	v_fma_f64 v[82:83], v[40:41], v[50:51], -v[44:45]
	v_mul_f64 v[40:41], v[40:41], v[52:53]
	v_fma_f64 v[128:129], v[42:43], v[50:51], v[40:41]
	v_add_f64 v[42:43], v[112:113], v[114:115]
	v_add_f64 v[40:41], v[36:37], v[112:113]
	;; [unrolled: 1-line block ×3, first 2 shown]
	v_add_f64 v[112:113], v[132:133], -v[136:137]
	v_fma_f64 v[36:37], v[42:43], -0.5, v[36:37]
	v_add_f64 v[42:43], v[118:119], -v[120:121]
	v_add_f64 v[40:41], v[40:41], v[114:115]
	v_add_f64 v[114:115], v[132:133], v[136:137]
	v_fma_f64 v[44:45], v[42:43], s[22:23], v[36:37]
	v_fma_f64 v[36:37], v[42:43], s[24:25], v[36:37]
	v_add_f64 v[42:43], v[38:39], v[118:119]
	v_fma_f64 v[38:39], v[46:47], -0.5, v[38:39]
	v_fma_f64 v[114:115], v[114:115], -0.5, v[6:7]
	v_add_f64 v[118:119], v[80:81], v[82:83]
	v_add_f64 v[42:43], v[42:43], v[120:121]
	v_fma_f64 v[46:47], v[48:49], s[24:25], v[38:39]
	v_fma_f64 v[38:39], v[48:49], s[22:23], v[38:39]
	v_add_f64 v[48:49], v[32:33], v[116:117]
	v_fma_f64 v[32:33], v[50:51], -0.5, v[32:33]
	v_add_f64 v[50:51], v[110:111], -v[106:107]
	v_add_f64 v[116:117], v[126:127], -v[160:161]
	v_fma_f64 v[118:119], v[118:119], -0.5, v[0:1]
	v_add_f64 v[120:121], v[124:125], -v[128:129]
	v_add_f64 v[48:49], v[48:49], v[108:109]
	v_add_f64 v[108:109], v[134:135], -v[138:139]
	v_fma_f64 v[52:53], v[50:51], s[22:23], v[32:33]
	v_fma_f64 v[32:33], v[50:51], s[24:25], v[32:33]
	v_add_f64 v[50:51], v[34:35], v[110:111]
	v_fma_f64 v[34:35], v[54:55], -0.5, v[34:35]
	v_add_f64 v[110:111], v[126:127], v[160:161]
	v_add_f64 v[50:51], v[50:51], v[106:107]
	v_fma_f64 v[54:55], v[56:57], s[24:25], v[34:35]
	v_fma_f64 v[34:35], v[56:57], s[22:23], v[34:35]
	v_add_f64 v[56:57], v[28:29], v[104:105]
	v_fma_f64 v[28:29], v[58:59], -0.5, v[28:29]
	v_add_f64 v[58:59], v[102:103], -v[98:99]
	v_add_f64 v[106:107], v[140:141], v[144:145]
	v_add_f64 v[104:105], v[140:141], -v[144:145]
	v_fma_f64 v[110:111], v[110:111], -0.5, v[4:5]
	v_add_f64 v[56:57], v[56:57], v[100:101]
	v_add_f64 v[100:101], v[142:143], -v[146:147]
	v_fma_f64 v[60:61], v[58:59], s[22:23], v[28:29]
	v_fma_f64 v[28:29], v[58:59], s[24:25], v[28:29]
	v_add_f64 v[58:59], v[30:31], v[102:103]
	v_fma_f64 v[30:31], v[62:63], -0.5, v[30:31]
	v_add_f64 v[102:103], v[134:135], v[138:139]
	v_fma_f64 v[106:107], v[106:107], -0.5, v[10:11]
	v_add_f64 v[58:59], v[58:59], v[98:99]
	v_fma_f64 v[62:63], v[64:65], s[24:25], v[30:31]
	v_fma_f64 v[30:31], v[64:65], s[22:23], v[30:31]
	v_add_f64 v[64:65], v[24:25], v[96:97]
	v_fma_f64 v[24:25], v[66:67], -0.5, v[24:25]
	v_add_f64 v[66:67], v[94:95], -v[90:91]
	v_add_f64 v[98:99], v[148:149], v[152:153]
	v_add_f64 v[96:97], v[148:149], -v[152:153]
	v_fma_f64 v[102:103], v[102:103], -0.5, v[8:9]
	v_add_f64 v[64:65], v[64:65], v[92:93]
	v_add_f64 v[92:93], v[150:151], -v[154:155]
	v_fma_f64 v[68:69], v[66:67], s[22:23], v[24:25]
	v_fma_f64 v[24:25], v[66:67], s[24:25], v[24:25]
	v_add_f64 v[66:67], v[26:27], v[94:95]
	v_fma_f64 v[26:27], v[70:71], -0.5, v[26:27]
	v_add_f64 v[94:95], v[142:143], v[146:147]
	v_fma_f64 v[98:99], v[98:99], -0.5, v[14:15]
	v_add_f64 v[66:67], v[66:67], v[90:91]
	v_fma_f64 v[70:71], v[72:73], s[24:25], v[26:27]
	v_fma_f64 v[26:27], v[72:73], s[22:23], v[26:27]
	v_add_f64 v[72:73], v[20:21], v[88:89]
	v_fma_f64 v[20:21], v[74:75], -0.5, v[20:21]
	v_add_f64 v[74:75], v[86:87], -v[122:123]
	v_add_f64 v[90:91], v[156:157], v[158:159]
	v_fma_f64 v[94:95], v[94:95], -0.5, v[12:13]
	v_add_f64 v[72:73], v[72:73], v[84:85]
	v_add_f64 v[84:85], v[88:89], -v[84:85]
	v_fma_f64 v[76:77], v[74:75], s[22:23], v[20:21]
	v_fma_f64 v[20:21], v[74:75], s[24:25], v[20:21]
	v_add_f64 v[74:75], v[22:23], v[86:87]
	v_add_f64 v[86:87], v[150:151], v[154:155]
	v_fma_f64 v[22:23], v[78:79], -0.5, v[22:23]
	v_add_f64 v[88:89], v[156:157], -v[158:159]
	v_fma_f64 v[90:91], v[90:91], -0.5, v[18:19]
	v_add_f64 v[74:75], v[74:75], v[122:123]
	v_fma_f64 v[86:87], v[86:87], -0.5, v[16:17]
	v_add_f64 v[122:123], v[124:125], v[128:129]
	v_fma_f64 v[78:79], v[84:85], s[24:25], v[22:23]
	v_fma_f64 v[22:23], v[84:85], s[22:23], v[22:23]
	v_add_f64 v[84:85], v[16:17], v[150:151]
	v_fma_f64 v[16:17], v[88:89], s[22:23], v[86:87]
	v_fma_f64 v[88:89], v[88:89], s[24:25], v[86:87]
	;; [unrolled: 3-line block ×9, first 2 shown]
	v_add_f64 v[116:117], v[0:1], v[80:81]
	v_fma_f64 v[122:123], v[122:123], -0.5, v[2:3]
	v_add_f64 v[80:81], v[80:81], -v[82:83]
	v_fma_f64 v[0:1], v[120:121], s[22:23], v[118:119]
	v_fma_f64 v[120:121], v[120:121], s[24:25], v[118:119]
	v_add_f64 v[118:119], v[2:3], v[124:125]
	v_add_f64 v[84:85], v[84:85], v[154:155]
	;; [unrolled: 1-line block ×10, first 2 shown]
	v_fma_f64 v[2:3], v[80:81], s[24:25], v[122:123]
	v_fma_f64 v[122:123], v[80:81], s[22:23], v[122:123]
	v_mov_b32_e32 v80, 30
	v_add_f64 v[118:119], v[118:119], v[128:129]
	v_mul_u32_u24_sdwa v81, v172, v80 dst_sel:DWORD dst_unused:UNUSED_PAD src0_sel:WORD_0 src1_sel:DWORD
	v_add_lshl_u32 v173, v81, v173, 4
	ds_write_b128 v173, v[40:43]
	ds_write_b128 v173, v[44:47] offset:160
	ds_write_b128 v173, v[36:39] offset:320
	v_mul_u32_u24_sdwa v36, v174, v80 dst_sel:DWORD dst_unused:UNUSED_PAD src0_sel:WORD_0 src1_sel:DWORD
	v_add_lshl_u32 v172, v36, v176, 4
	ds_write_b128 v172, v[48:51]
	ds_write_b128 v172, v[52:55] offset:160
	ds_write_b128 v172, v[32:35] offset:320
	v_mad_u16 v32, v177, 30, v178
	v_lshlrev_b32_sdwa v32, v169, v32 dst_sel:DWORD dst_unused:UNUSED_PAD src0_sel:DWORD src1_sel:WORD_0
	buffer_store_dword v32, off, s[28:31], 0 offset:1016 ; 4-byte Folded Spill
	ds_write_b128 v32, v[56:59]
	ds_write_b128 v32, v[60:63] offset:160
	ds_write_b128 v32, v[28:31] offset:320
	v_mad_u16 v28, v179, 30, v180
	v_lshlrev_b32_sdwa v28, v169, v28 dst_sel:DWORD dst_unused:UNUSED_PAD src0_sel:DWORD src1_sel:WORD_0
	buffer_store_dword v28, off, s[28:31], 0 offset:900 ; 4-byte Folded Spill
	;; [unrolled: 6-line block ×8, first 2 shown]
	ds_write_b128 v4, v[116:119]
	ds_write_b128 v4, v[0:3] offset:160
	ds_write_b128 v4, v[120:123] offset:320
	v_mul_lo_u16 v120, 0x89, v171
	s_waitcnt lgkmcnt(0)
	s_waitcnt_vscnt null, 0x0
	s_barrier
	buffer_gl0_inv
	ds_read_b128 v[4:7], v130
	ds_read_b128 v[116:119], v130 offset:4800
	ds_read_b128 v[112:115], v130 offset:9600
	;; [unrolled: 1-line block ×29, first 2 shown]
	v_lshrrev_b16 v160, 12, v120
	v_mul_lo_u16 v120, v160, 30
	v_sub_nc_u16 v120, v165, v120
	v_and_b32_e32 v161, 0xff, v120
	v_mad_u64_u32 v[120:121], null, 0x90, v161, s[10:11]
	s_clause 0x3
	global_load_dwordx4 v[136:139], v[120:121], off offset:368
	global_load_dwordx4 v[124:127], v[120:121], off offset:352
	;; [unrolled: 1-line block ×4, first 2 shown]
	s_waitcnt vmcnt(0) lgkmcnt(28)
	v_mul_f64 v[122:123], v[118:119], v[146:147]
	v_fma_f64 v[134:135], v[116:117], v[144:145], -v[122:123]
	buffer_store_dword v144, off, s[28:31], 0 offset:680 ; 4-byte Folded Spill
	buffer_store_dword v145, off, s[28:31], 0 offset:684 ; 4-byte Folded Spill
	;; [unrolled: 1-line block ×8, first 2 shown]
	v_mul_f64 v[116:117], v[116:117], v[146:147]
	v_fma_f64 v[122:123], v[118:119], v[144:145], v[116:117]
	s_waitcnt lgkmcnt(27)
	v_mul_f64 v[116:117], v[114:115], v[142:143]
	v_fma_f64 v[146:147], v[112:113], v[140:141], -v[116:117]
	v_mul_f64 v[112:113], v[112:113], v[142:143]
	v_fma_f64 v[142:143], v[114:115], v[140:141], v[112:113]
	v_mov_b32_e32 v114, v124
	v_mov_b32_e32 v115, v125
	;; [unrolled: 1-line block ×4, first 2 shown]
	buffer_store_dword v114, off, s[28:31], 0 offset:700 ; 4-byte Folded Spill
	buffer_store_dword v115, off, s[28:31], 0 offset:704 ; 4-byte Folded Spill
	;; [unrolled: 1-line block ×8, first 2 shown]
	s_waitcnt lgkmcnt(26)
	v_mul_f64 v[112:113], v[110:111], v[116:117]
	v_fma_f64 v[126:127], v[108:109], v[114:115], -v[112:113]
	v_mul_f64 v[108:109], v[108:109], v[116:117]
	v_fma_f64 v[124:125], v[110:111], v[114:115], v[108:109]
	s_waitcnt lgkmcnt(25)
	v_mul_f64 v[108:109], v[106:107], v[138:139]
	v_fma_f64 v[148:149], v[104:105], v[136:137], -v[108:109]
	v_mul_f64 v[104:105], v[104:105], v[138:139]
	v_fma_f64 v[144:145], v[106:107], v[136:137], v[104:105]
	s_clause 0x3
	global_load_dwordx4 v[106:109], v[120:121], off offset:432
	global_load_dwordx4 v[110:113], v[120:121], off offset:416
	global_load_dwordx4 v[114:117], v[120:121], off offset:400
	global_load_dwordx4 v[136:139], v[120:121], off offset:384
	s_waitcnt vmcnt(0) lgkmcnt(24)
	v_mul_f64 v[104:105], v[102:103], v[138:139]
	v_fma_f64 v[158:159], v[100:101], v[136:137], -v[104:105]
	buffer_store_dword v136, off, s[28:31], 0 offset:736 ; 4-byte Folded Spill
	buffer_store_dword v137, off, s[28:31], 0 offset:740 ; 4-byte Folded Spill
	;; [unrolled: 1-line block ×16, first 2 shown]
	v_mul_f64 v[100:101], v[100:101], v[138:139]
	v_fma_f64 v[128:129], v[102:103], v[136:137], v[100:101]
	s_waitcnt lgkmcnt(23)
	v_mul_f64 v[100:101], v[98:99], v[116:117]
	v_fma_f64 v[154:155], v[96:97], v[114:115], -v[100:101]
	v_mul_f64 v[96:97], v[96:97], v[116:117]
	v_fma_f64 v[150:151], v[98:99], v[114:115], v[96:97]
	s_waitcnt lgkmcnt(22)
	v_mul_f64 v[96:97], v[94:95], v[112:113]
	v_fma_f64 v[136:137], v[92:93], v[110:111], -v[96:97]
	;; [unrolled: 5-line block ×3, first 2 shown]
	v_mul_f64 v[88:89], v[88:89], v[108:109]
	v_fma_f64 v[152:153], v[90:91], v[106:107], v[88:89]
	global_load_dwordx4 v[90:93], v[120:121], off offset:448
	s_waitcnt vmcnt(0)
	buffer_store_dword v90, off, s[28:31], 0 offset:800 ; 4-byte Folded Spill
	buffer_store_dword v91, off, s[28:31], 0 offset:804 ; 4-byte Folded Spill
	;; [unrolled: 1-line block ×4, first 2 shown]
	s_waitcnt lgkmcnt(20)
	v_mul_f64 v[88:89], v[86:87], v[92:93]
	v_fma_f64 v[140:141], v[84:85], v[90:91], -v[88:89]
	v_mul_f64 v[84:85], v[84:85], v[92:93]
	v_fma_f64 v[138:139], v[86:87], v[90:91], v[84:85]
	v_mul_lo_u16 v84, 0x89, v170
	v_lshrrev_b16 v165, 12, v84
	v_mul_lo_u16 v84, v165, 30
	v_sub_nc_u16 v84, v166, v84
	v_and_b32_e32 v166, 0xff, v84
	v_mad_u64_u32 v[84:85], null, 0x90, v166, s[10:11]
	s_clause 0x3
	global_load_dwordx4 v[88:91], v[84:85], off offset:368
	global_load_dwordx4 v[92:95], v[84:85], off offset:352
	;; [unrolled: 1-line block ×4, first 2 shown]
	s_waitcnt vmcnt(0) lgkmcnt(18)
	v_mul_f64 v[86:87], v[82:83], v[102:103]
	v_fma_f64 v[120:121], v[80:81], v[100:101], -v[86:87]
	buffer_store_dword v100, off, s[28:31], 0 offset:920 ; 4-byte Folded Spill
	buffer_store_dword v101, off, s[28:31], 0 offset:924 ; 4-byte Folded Spill
	;; [unrolled: 1-line block ×16, first 2 shown]
	v_mul_f64 v[80:81], v[80:81], v[102:103]
	v_fma_f64 v[80:81], v[82:83], v[100:101], v[80:81]
	s_waitcnt lgkmcnt(17)
	v_mul_f64 v[82:83], v[78:79], v[98:99]
	v_fma_f64 v[82:83], v[76:77], v[96:97], -v[82:83]
	v_mul_f64 v[76:77], v[76:77], v[98:99]
	v_fma_f64 v[78:79], v[78:79], v[96:97], v[76:77]
	s_waitcnt lgkmcnt(16)
	v_mul_f64 v[76:77], v[74:75], v[94:95]
	v_fma_f64 v[76:77], v[72:73], v[92:93], -v[76:77]
	;; [unrolled: 5-line block ×3, first 2 shown]
	v_mul_f64 v[68:69], v[68:69], v[90:91]
	v_fma_f64 v[70:71], v[70:71], v[88:89], v[68:69]
	s_clause 0x3
	global_load_dwordx4 v[86:89], v[84:85], off offset:432
	global_load_dwordx4 v[90:93], v[84:85], off offset:416
	;; [unrolled: 1-line block ×4, first 2 shown]
	s_waitcnt vmcnt(0) lgkmcnt(14)
	v_mul_f64 v[68:69], v[66:67], v[100:101]
	v_fma_f64 v[68:69], v[64:65], v[98:99], -v[68:69]
	buffer_store_dword v98, off, s[28:31], 0 offset:1100 ; 4-byte Folded Spill
	buffer_store_dword v99, off, s[28:31], 0 offset:1104 ; 4-byte Folded Spill
	;; [unrolled: 1-line block ×16, first 2 shown]
	v_mul_f64 v[64:65], v[64:65], v[100:101]
	v_fma_f64 v[64:65], v[66:67], v[98:99], v[64:65]
	s_waitcnt lgkmcnt(13)
	v_mul_f64 v[66:67], v[62:63], v[96:97]
	v_fma_f64 v[66:67], v[60:61], v[94:95], -v[66:67]
	v_mul_f64 v[60:61], v[60:61], v[96:97]
	v_fma_f64 v[62:63], v[62:63], v[94:95], v[60:61]
	s_waitcnt lgkmcnt(12)
	v_mul_f64 v[60:61], v[58:59], v[92:93]
	v_fma_f64 v[60:61], v[56:57], v[90:91], -v[60:61]
	;; [unrolled: 5-line block ×3, first 2 shown]
	v_mul_f64 v[52:53], v[52:53], v[88:89]
	v_fma_f64 v[54:55], v[54:55], v[86:87], v[52:53]
	global_load_dwordx4 v[84:87], v[84:85], off offset:448
	s_waitcnt vmcnt(0) lgkmcnt(10)
	v_mul_f64 v[52:53], v[50:51], v[86:87]
	v_fma_f64 v[52:53], v[48:49], v[84:85], -v[52:53]
	buffer_store_dword v84, off, s[28:31], 0 offset:1244 ; 4-byte Folded Spill
	buffer_store_dword v85, off, s[28:31], 0 offset:1248 ; 4-byte Folded Spill
	buffer_store_dword v86, off, s[28:31], 0 offset:1252 ; 4-byte Folded Spill
	buffer_store_dword v87, off, s[28:31], 0 offset:1256 ; 4-byte Folded Spill
	v_mul_f64 v[48:49], v[48:49], v[86:87]
	v_fma_f64 v[48:49], v[50:51], v[84:85], v[48:49]
	v_mov_b32_e32 v50, 0x8889
	v_mul_u32_u24_sdwa v50, v167, v50 dst_sel:DWORD dst_unused:UNUSED_PAD src0_sel:WORD_0 src1_sel:DWORD
	v_lshrrev_b32_e32 v168, 20, v50
	v_mul_lo_u16 v50, v168, 30
	v_sub_nc_u16 v167, v167, v50
	v_mul_lo_u16 v50, 0x90, v167
	v_and_b32_e32 v50, 0xffff, v50
	v_add_co_u32 v50, s26, s10, v50
	v_add_co_ci_u32_e64 v51, null, s11, 0, s26
	s_clause 0x3
	global_load_dwordx4 v[90:93], v[50:51], off offset:368
	global_load_dwordx4 v[86:89], v[50:51], off offset:352
	;; [unrolled: 1-line block ×4, first 2 shown]
	s_waitcnt vmcnt(0) lgkmcnt(8)
	v_mul_f64 v[84:85], v[42:43], v[104:105]
	v_fma_f64 v[100:101], v[40:41], v[102:103], -v[84:85]
	buffer_store_dword v102, off, s[28:31], 0 offset:1276 ; 4-byte Folded Spill
	buffer_store_dword v103, off, s[28:31], 0 offset:1280 ; 4-byte Folded Spill
	;; [unrolled: 1-line block ×8, first 2 shown]
	v_mul_f64 v[40:41], v[40:41], v[104:105]
	v_fma_f64 v[84:85], v[42:43], v[102:103], v[40:41]
	s_waitcnt lgkmcnt(7)
	v_mul_f64 v[40:41], v[38:39], v[96:97]
	v_fma_f64 v[108:109], v[36:37], v[94:95], -v[40:41]
	v_mul_f64 v[36:37], v[36:37], v[96:97]
	v_fma_f64 v[104:105], v[38:39], v[94:95], v[36:37]
	v_mov_b32_e32 v38, v86
	v_mov_b32_e32 v39, v87
	;; [unrolled: 1-line block ×4, first 2 shown]
	buffer_store_dword v38, off, s[28:31], 0 offset:1308 ; 4-byte Folded Spill
	buffer_store_dword v39, off, s[28:31], 0 offset:1312 ; 4-byte Folded Spill
	;; [unrolled: 1-line block ×8, first 2 shown]
	s_waitcnt lgkmcnt(6)
	v_mul_f64 v[36:37], v[34:35], v[40:41]
	v_fma_f64 v[88:89], v[32:33], v[38:39], -v[36:37]
	v_mul_f64 v[32:33], v[32:33], v[40:41]
	v_fma_f64 v[86:87], v[34:35], v[38:39], v[32:33]
	s_waitcnt lgkmcnt(5)
	v_mul_f64 v[32:33], v[30:31], v[92:93]
	v_fma_f64 v[110:111], v[28:29], v[90:91], -v[32:33]
	v_mul_f64 v[28:29], v[28:29], v[92:93]
	v_fma_f64 v[106:107], v[30:31], v[90:91], v[28:29]
	s_clause 0x3
	global_load_dwordx4 v[30:33], v[50:51], off offset:432
	global_load_dwordx4 v[252:255], v[50:51], off offset:416
	;; [unrolled: 1-line block ×4, first 2 shown]
	s_waitcnt vmcnt(3)
	buffer_store_dword v30, off, s[28:31], 0 offset:1372 ; 4-byte Folded Spill
	buffer_store_dword v31, off, s[28:31], 0 offset:1376 ; 4-byte Folded Spill
	;; [unrolled: 1-line block ×4, first 2 shown]
	global_load_dwordx4 v[176:179], v[50:51], off offset:448
	s_waitcnt vmcnt(0) lgkmcnt(0)
	s_waitcnt_vscnt null, 0x0
	v_mul_f64 v[28:29], v[26:27], v[186:187]
	s_barrier
	buffer_gl0_inv
	v_fma_f64 v[92:93], v[24:25], v[184:185], -v[28:29]
	v_mul_f64 v[24:25], v[24:25], v[186:187]
	v_fma_f64 v[90:91], v[26:27], v[184:185], v[24:25]
	v_mul_f64 v[24:25], v[22:23], v[250:251]
	v_fma_f64 v[116:117], v[20:21], v[248:249], -v[24:25]
	v_mul_f64 v[20:21], v[20:21], v[250:251]
	v_fma_f64 v[112:113], v[22:23], v[248:249], v[20:21]
	v_mul_f64 v[20:21], v[18:19], v[254:255]
	v_fma_f64 v[96:97], v[16:17], v[252:253], -v[20:21]
	v_mul_f64 v[16:17], v[16:17], v[254:255]
	v_add_f64 v[20:21], v[132:133], -v[138:139]
	v_fma_f64 v[94:95], v[18:19], v[252:253], v[16:17]
	v_add_f64 v[18:19], v[156:157], -v[154:155]
	v_mul_f64 v[16:17], v[14:15], v[32:33]
	v_fma_f64 v[118:119], v[12:13], v[30:31], -v[16:17]
	v_mul_f64 v[12:13], v[12:13], v[32:33]
	v_add_f64 v[16:17], v[146:147], -v[148:149]
	v_fma_f64 v[114:115], v[14:15], v[30:31], v[12:13]
	v_mul_f64 v[12:13], v[10:11], v[178:179]
	v_add_f64 v[14:15], v[144:145], -v[150:151]
	v_add_f64 v[16:17], v[16:17], v[18:19]
	v_add_f64 v[18:19], v[138:139], -v[132:133]
	v_fma_f64 v[102:103], v[8:9], v[176:177], -v[12:13]
	v_mul_f64 v[8:9], v[8:9], v[178:179]
	v_fma_f64 v[98:99], v[10:11], v[176:177], v[8:9]
	v_add_f64 v[8:9], v[4:5], v[146:147]
	v_add_f64 v[10:11], v[142:143], -v[152:153]
	v_add_f64 v[8:9], v[8:9], v[148:149]
	v_add_f64 v[8:9], v[8:9], v[154:155]
	;; [unrolled: 1-line block ×4, first 2 shown]
	v_fma_f64 v[8:9], v[8:9], -0.5, v[4:5]
	v_fma_f64 v[12:13], v[10:11], s[4:5], v[8:9]
	v_fma_f64 v[8:9], v[10:11], s[8:9], v[8:9]
	;; [unrolled: 1-line block ×6, first 2 shown]
	v_add_f64 v[8:9], v[146:147], v[156:157]
	v_add_f64 v[12:13], v[148:149], -v[146:147]
	v_add_f64 v[16:17], v[154:155], -v[156:157]
	v_fma_f64 v[4:5], v[8:9], -0.5, v[4:5]
	v_add_f64 v[12:13], v[12:13], v[16:17]
	v_add_f64 v[16:17], v[152:153], -v[150:151]
	v_fma_f64 v[8:9], v[14:15], s[8:9], v[4:5]
	v_fma_f64 v[4:5], v[14:15], s[4:5], v[4:5]
	v_add_f64 v[14:15], v[142:143], -v[144:145]
	v_fma_f64 v[8:9], v[10:11], s[2:3], v[8:9]
	v_fma_f64 v[4:5], v[10:11], s[14:15], v[4:5]
	v_add_f64 v[14:15], v[14:15], v[16:17]
	v_add_f64 v[16:17], v[136:137], -v[140:141]
	v_fma_f64 v[32:33], v[12:13], s[6:7], v[8:9]
	v_fma_f64 v[50:51], v[12:13], s[6:7], v[4:5]
	v_add_f64 v[4:5], v[6:7], v[142:143]
	v_add_f64 v[8:9], v[146:147], -v[156:157]
	v_add_f64 v[12:13], v[148:149], -v[154:155]
	v_add_f64 v[4:5], v[4:5], v[144:145]
	v_add_f64 v[4:5], v[4:5], v[150:151]
	;; [unrolled: 1-line block ×4, first 2 shown]
	v_fma_f64 v[4:5], v[4:5], -0.5, v[6:7]
	v_fma_f64 v[10:11], v[8:9], s[8:9], v[4:5]
	v_fma_f64 v[4:5], v[8:9], s[4:5], v[4:5]
	;; [unrolled: 1-line block ×6, first 2 shown]
	v_add_f64 v[4:5], v[142:143], v[152:153]
	v_add_f64 v[10:11], v[144:145], -v[142:143]
	v_add_f64 v[14:15], v[150:151], -v[152:153]
	v_fma_f64 v[4:5], v[4:5], -0.5, v[6:7]
	v_add_f64 v[10:11], v[10:11], v[14:15]
	v_add_f64 v[14:15], v[140:141], -v[136:137]
	v_fma_f64 v[6:7], v[12:13], s[4:5], v[4:5]
	v_fma_f64 v[4:5], v[12:13], s[8:9], v[4:5]
	v_add_f64 v[12:13], v[126:127], -v[158:159]
	v_fma_f64 v[6:7], v[8:9], s[14:15], v[6:7]
	v_fma_f64 v[4:5], v[8:9], s[2:3], v[4:5]
	v_add_f64 v[12:13], v[12:13], v[14:15]
	v_fma_f64 v[34:35], v[10:11], s[6:7], v[6:7]
	v_fma_f64 v[30:31], v[10:11], s[6:7], v[4:5]
	v_add_f64 v[4:5], v[134:135], v[126:127]
	v_add_f64 v[6:7], v[124:125], -v[138:139]
	v_add_f64 v[10:11], v[128:129], -v[132:133]
	v_add_f64 v[4:5], v[4:5], v[158:159]
	v_add_f64 v[4:5], v[4:5], v[136:137]
	;; [unrolled: 1-line block ×4, first 2 shown]
	v_fma_f64 v[4:5], v[4:5], -0.5, v[134:135]
	v_fma_f64 v[8:9], v[6:7], s[4:5], v[4:5]
	v_fma_f64 v[4:5], v[6:7], s[8:9], v[4:5]
	;; [unrolled: 1-line block ×6, first 2 shown]
	v_add_f64 v[4:5], v[126:127], v[140:141]
	v_add_f64 v[12:13], v[158:159], -v[126:127]
	v_fma_f64 v[4:5], v[4:5], -0.5, v[134:135]
	v_add_f64 v[12:13], v[12:13], v[16:17]
	v_add_f64 v[16:17], v[124:125], -v[128:129]
	v_fma_f64 v[8:9], v[10:11], s[8:9], v[4:5]
	v_fma_f64 v[4:5], v[10:11], s[4:5], v[4:5]
	v_add_f64 v[16:17], v[16:17], v[18:19]
	v_add_f64 v[18:19], v[128:129], -v[124:125]
	v_fma_f64 v[8:9], v[6:7], s[2:3], v[8:9]
	v_fma_f64 v[4:5], v[6:7], s[14:15], v[4:5]
	v_add_f64 v[18:19], v[18:19], v[20:21]
	v_add_f64 v[20:21], v[24:25], v[36:37]
	v_fma_f64 v[134:135], v[12:13], s[6:7], v[8:9]
	v_fma_f64 v[6:7], v[12:13], s[6:7], v[4:5]
	v_add_f64 v[4:5], v[122:123], v[124:125]
	v_add_f64 v[8:9], v[126:127], -v[140:141]
	v_add_f64 v[12:13], v[158:159], -v[136:137]
	v_add_f64 v[4:5], v[4:5], v[128:129]
	v_add_f64 v[4:5], v[4:5], v[132:133]
	;; [unrolled: 1-line block ×5, first 2 shown]
	v_fma_f64 v[4:5], v[4:5], -0.5, v[122:123]
	v_fma_f64 v[10:11], v[8:9], s[8:9], v[4:5]
	v_fma_f64 v[4:5], v[8:9], s[4:5], v[4:5]
	;; [unrolled: 1-line block ×6, first 2 shown]
	v_add_f64 v[4:5], v[124:125], v[138:139]
	v_fma_f64 v[4:5], v[4:5], -0.5, v[122:123]
	v_fma_f64 v[16:17], v[12:13], s[4:5], v[4:5]
	v_fma_f64 v[4:5], v[12:13], s[8:9], v[4:5]
	;; [unrolled: 1-line block ×6, first 2 shown]
	v_mul_f64 v[4:5], v[10:11], s[2:3]
	v_fma_f64 v[128:129], v[14:15], s[20:21], v[4:5]
	v_mul_f64 v[14:15], v[14:15], s[14:15]
	v_mul_f64 v[4:5], v[122:123], s[4:5]
	v_add_f64 v[16:17], v[28:29], v[128:129]
	v_fma_f64 v[140:141], v[10:11], s[20:21], v[14:15]
	v_mul_f64 v[10:11], v[134:135], s[8:9]
	v_fma_f64 v[132:133], v[134:135], s[6:7], v[4:5]
	v_mul_f64 v[4:5], v[6:7], s[16:17]
	v_add_f64 v[134:135], v[58:59], -v[66:67]
	v_add_f64 v[18:19], v[38:39], v[140:141]
	v_fma_f64 v[122:123], v[122:123], s[6:7], v[10:11]
	v_mul_f64 v[10:11], v[124:125], s[16:17]
	v_fma_f64 v[136:137], v[124:125], s[4:5], v[4:5]
	v_mul_f64 v[4:5], v[40:41], s[18:19]
	v_add_f64 v[12:13], v[32:33], v[132:133]
	v_add_f64 v[32:33], v[32:33], -v[132:133]
	v_add_f64 v[132:133], v[70:71], -v[62:63]
	;; [unrolled: 1-line block ×3, first 2 shown]
	v_add_f64 v[14:15], v[34:35], v[122:123]
	v_fma_f64 v[124:125], v[6:7], s[8:9], v[10:11]
	v_mul_f64 v[6:7], v[126:127], s[18:19]
	v_add_f64 v[8:9], v[50:51], v[136:137]
	v_fma_f64 v[138:139], v[126:127], s[2:3], v[4:5]
	v_add_f64 v[34:35], v[34:35], -v[122:123]
	v_add_f64 v[122:123], v[78:79], -v[54:55]
	v_add_f64 v[10:11], v[30:31], v[124:125]
	v_fma_f64 v[126:127], v[40:41], s[14:15], v[6:7]
	v_add_f64 v[40:41], v[24:25], -v[36:37]
	v_add_f64 v[36:37], v[28:29], -v[128:129]
	;; [unrolled: 1-line block ×3, first 2 shown]
	v_add_f64 v[50:51], v[44:45], v[82:83]
	v_add_f64 v[30:31], v[30:31], -v[124:125]
	v_add_f64 v[128:129], v[82:83], -v[74:75]
	;; [unrolled: 1-line block ×3, first 2 shown]
	v_add_f64 v[4:5], v[42:43], v[138:139]
	v_add_f64 v[24:25], v[42:43], -v[138:139]
	v_add_f64 v[42:43], v[170:171], -v[142:143]
	v_add_f64 v[6:7], v[26:27], v[126:127]
	v_add_f64 v[26:27], v[26:27], -v[126:127]
	v_add_f64 v[50:51], v[50:51], v[74:75]
	v_add_f64 v[128:129], v[128:129], v[134:135]
	v_add_f64 v[134:135], v[74:75], -v[82:83]
	v_add_f64 v[50:51], v[50:51], v[66:67]
	v_add_f64 v[134:135], v[134:135], v[136:137]
	;; [unrolled: 1-line block ×4, first 2 shown]
	v_fma_f64 v[50:51], v[50:51], -0.5, v[44:45]
	v_fma_f64 v[126:127], v[122:123], s[4:5], v[50:51]
	v_fma_f64 v[50:51], v[122:123], s[8:9], v[50:51]
	;; [unrolled: 1-line block ×6, first 2 shown]
	v_add_f64 v[50:51], v[82:83], v[58:59]
	v_fma_f64 v[44:45], v[50:51], -0.5, v[44:45]
	v_fma_f64 v[50:51], v[132:133], s[8:9], v[44:45]
	v_fma_f64 v[44:45], v[132:133], s[4:5], v[44:45]
	;; [unrolled: 1-line block ×6, first 2 shown]
	v_add_f64 v[44:45], v[46:47], v[78:79]
	v_add_f64 v[50:51], v[82:83], -v[58:59]
	v_add_f64 v[82:83], v[74:75], -v[66:67]
	v_add_f64 v[66:67], v[78:79], -v[70:71]
	v_add_f64 v[74:75], v[54:55], -v[62:63]
	v_add_f64 v[44:45], v[44:45], v[70:71]
	v_add_f64 v[66:67], v[66:67], v[74:75]
	;; [unrolled: 1-line block ×5, first 2 shown]
	v_fma_f64 v[44:45], v[44:45], -0.5, v[46:47]
	v_fma_f64 v[58:59], v[50:51], s[8:9], v[44:45]
	v_fma_f64 v[44:45], v[50:51], s[4:5], v[44:45]
	;; [unrolled: 1-line block ×6, first 2 shown]
	v_add_f64 v[44:45], v[78:79], v[54:55]
	v_add_f64 v[58:59], v[70:71], -v[78:79]
	v_add_f64 v[54:55], v[62:63], -v[54:55]
	;; [unrolled: 1-line block ×3, first 2 shown]
	v_fma_f64 v[44:45], v[44:45], -0.5, v[46:47]
	v_add_f64 v[54:55], v[58:59], v[54:55]
	v_add_f64 v[58:59], v[76:77], -v[68:69]
	v_fma_f64 v[46:47], v[82:83], s[4:5], v[44:45]
	v_fma_f64 v[44:45], v[82:83], s[8:9], v[44:45]
	v_add_f64 v[58:59], v[58:59], v[62:63]
	v_add_f64 v[62:63], v[68:69], -v[76:77]
	v_fma_f64 v[46:47], v[50:51], s[14:15], v[46:47]
	v_fma_f64 v[44:45], v[50:51], s[2:3], v[44:45]
	;; [unrolled: 1-line block ×4, first 2 shown]
	v_add_f64 v[44:45], v[120:121], v[76:77]
	v_add_f64 v[46:47], v[72:73], -v[48:49]
	v_add_f64 v[54:55], v[64:65], -v[56:57]
	v_add_f64 v[44:45], v[44:45], v[68:69]
	v_add_f64 v[44:45], v[44:45], v[60:61]
	;; [unrolled: 1-line block ×4, first 2 shown]
	v_fma_f64 v[44:45], v[44:45], -0.5, v[120:121]
	v_fma_f64 v[50:51], v[46:47], s[4:5], v[44:45]
	v_fma_f64 v[44:45], v[46:47], s[8:9], v[44:45]
	;; [unrolled: 1-line block ×6, first 2 shown]
	v_add_f64 v[44:45], v[76:77], v[52:53]
	v_fma_f64 v[44:45], v[44:45], -0.5, v[120:121]
	v_add_f64 v[120:121], v[60:61], -v[52:53]
	v_add_f64 v[52:53], v[76:77], -v[52:53]
	v_fma_f64 v[58:59], v[54:55], s[8:9], v[44:45]
	v_fma_f64 v[44:45], v[54:55], s[4:5], v[44:45]
	v_add_f64 v[62:63], v[62:63], v[120:121]
	v_fma_f64 v[58:59], v[46:47], s[2:3], v[58:59]
	v_fma_f64 v[44:45], v[46:47], s[14:15], v[44:45]
	;; [unrolled: 1-line block ×4, first 2 shown]
	v_add_f64 v[44:45], v[80:81], v[72:73]
	v_add_f64 v[58:59], v[68:69], -v[60:61]
	v_add_f64 v[60:61], v[72:73], -v[64:65]
	;; [unrolled: 1-line block ×3, first 2 shown]
	v_add_f64 v[44:45], v[44:45], v[64:65]
	v_add_f64 v[60:61], v[60:61], v[62:63]
	v_add_f64 v[62:63], v[64:65], -v[72:73]
	v_add_f64 v[44:45], v[44:45], v[56:57]
	v_add_f64 v[138:139], v[44:45], v[48:49]
	;; [unrolled: 1-line block ×3, first 2 shown]
	v_fma_f64 v[44:45], v[44:45], -0.5, v[80:81]
	v_fma_f64 v[54:55], v[52:53], s[8:9], v[44:45]
	v_fma_f64 v[44:45], v[52:53], s[4:5], v[44:45]
	;; [unrolled: 1-line block ×6, first 2 shown]
	v_add_f64 v[44:45], v[72:73], v[48:49]
	v_add_f64 v[48:49], v[56:57], -v[48:49]
	v_fma_f64 v[44:45], v[44:45], -0.5, v[80:81]
	v_add_f64 v[48:49], v[62:63], v[48:49]
	v_add_f64 v[80:81], v[124:125], -v[78:79]
	v_add_f64 v[62:63], v[134:135], v[138:139]
	v_fma_f64 v[60:61], v[58:59], s[4:5], v[44:45]
	v_fma_f64 v[44:45], v[58:59], s[8:9], v[44:45]
	;; [unrolled: 1-line block ×6, first 2 shown]
	v_mul_f64 v[44:45], v[54:55], s[2:3]
	v_add_f64 v[60:61], v[124:125], v[78:79]
	v_fma_f64 v[76:77], v[50:51], s[20:21], v[44:45]
	v_mul_f64 v[50:51], v[50:51], s[14:15]
	v_mul_f64 v[44:45], v[64:65], s[4:5]
	v_add_f64 v[56:57], v[126:127], v[76:77]
	v_fma_f64 v[146:147], v[54:55], s[20:21], v[50:51]
	v_mul_f64 v[50:51], v[120:121], s[8:9]
	v_fma_f64 v[140:141], v[120:121], s[6:7], v[44:45]
	v_mul_f64 v[44:45], v[46:47], s[16:17]
	v_add_f64 v[76:77], v[126:127], -v[76:77]
	v_add_f64 v[58:59], v[122:123], v[146:147]
	v_fma_f64 v[120:121], v[64:65], s[6:7], v[50:51]
	v_mul_f64 v[50:51], v[72:73], s[16:17]
	v_fma_f64 v[142:143], v[72:73], s[4:5], v[44:45]
	v_mul_f64 v[44:45], v[82:83], s[18:19]
	v_add_f64 v[78:79], v[122:123], -v[146:147]
	v_add_f64 v[122:123], v[104:105], -v[114:115]
	v_add_f64 v[52:53], v[136:137], v[140:141]
	v_add_f64 v[72:73], v[136:137], -v[140:141]
	v_add_f64 v[136:137], v[116:117], -v[118:119]
	v_add_f64 v[54:55], v[74:75], v[120:121]
	v_add_f64 v[74:75], v[74:75], -v[120:121]
	v_add_f64 v[120:121], v[0:1], v[108:109]
	v_fma_f64 v[144:145], v[68:69], s[2:3], v[44:45]
	v_fma_f64 v[148:149], v[46:47], s[8:9], v[50:51]
	v_mul_f64 v[46:47], v[68:69], s[18:19]
	v_add_f64 v[48:49], v[132:133], v[142:143]
	v_add_f64 v[68:69], v[132:133], -v[142:143]
	v_add_f64 v[132:133], v[106:107], -v[112:113]
	v_add_f64 v[120:121], v[120:121], v[110:111]
	v_add_f64 v[44:45], v[128:129], v[144:145]
	v_add_f64 v[64:65], v[128:129], -v[144:145]
	v_fma_f64 v[150:151], v[82:83], s[14:15], v[46:47]
	v_add_f64 v[82:83], v[134:135], -v[138:139]
	v_add_f64 v[128:129], v[108:109], -v[110:111]
	;; [unrolled: 1-line block ×3, first 2 shown]
	v_add_f64 v[50:51], v[70:71], v[148:149]
	v_add_f64 v[70:71], v[70:71], -v[148:149]
	v_add_f64 v[120:121], v[120:121], v[116:117]
	v_add_f64 v[46:47], v[66:67], v[150:151]
	v_add_f64 v[66:67], v[66:67], -v[150:151]
	v_add_f64 v[128:129], v[128:129], v[134:135]
	v_add_f64 v[134:135], v[110:111], -v[108:109]
	v_add_f64 v[124:125], v[120:121], v[118:119]
	v_add_f64 v[120:121], v[110:111], v[116:117]
	v_add_f64 v[116:117], v[110:111], -v[116:117]
	v_add_f64 v[134:135], v[134:135], v[136:137]
	v_fma_f64 v[120:121], v[120:121], -0.5, v[0:1]
	v_fma_f64 v[126:127], v[122:123], s[4:5], v[120:121]
	v_fma_f64 v[120:121], v[122:123], s[8:9], v[120:121]
	;; [unrolled: 1-line block ×6, first 2 shown]
	v_add_f64 v[120:121], v[108:109], v[118:119]
	v_add_f64 v[108:109], v[108:109], -v[118:119]
	v_fma_f64 v[0:1], v[120:121], -0.5, v[0:1]
	v_fma_f64 v[120:121], v[132:133], s[8:9], v[0:1]
	v_fma_f64 v[0:1], v[132:133], s[4:5], v[0:1]
	;; [unrolled: 1-line block ×6, first 2 shown]
	v_add_f64 v[0:1], v[2:3], v[104:105]
	v_add_f64 v[120:121], v[114:115], -v[112:113]
	v_add_f64 v[0:1], v[0:1], v[106:107]
	v_add_f64 v[0:1], v[0:1], v[112:113]
	;; [unrolled: 1-line block ×4, first 2 shown]
	v_fma_f64 v[0:1], v[0:1], -0.5, v[2:3]
	v_fma_f64 v[118:119], v[108:109], s[8:9], v[0:1]
	v_fma_f64 v[0:1], v[108:109], s[4:5], v[0:1]
	;; [unrolled: 1-line block ×3, first 2 shown]
	v_add_f64 v[118:119], v[104:105], -v[106:107]
	v_fma_f64 v[0:1], v[116:117], s[2:3], v[0:1]
	v_add_f64 v[118:119], v[118:119], v[120:121]
	v_fma_f64 v[120:121], v[118:119], s[6:7], v[0:1]
	v_add_f64 v[0:1], v[104:105], v[114:115]
	v_add_f64 v[104:105], v[106:107], -v[104:105]
	v_add_f64 v[106:107], v[112:113], -v[114:115]
	v_fma_f64 v[122:123], v[118:119], s[6:7], v[110:111]
	v_add_f64 v[112:113], v[90:91], -v[94:95]
	v_add_f64 v[114:115], v[88:89], -v[92:93]
	;; [unrolled: 1-line block ×3, first 2 shown]
	v_fma_f64 v[0:1], v[0:1], -0.5, v[2:3]
	v_add_f64 v[104:105], v[104:105], v[106:107]
	v_fma_f64 v[2:3], v[116:117], s[4:5], v[0:1]
	v_fma_f64 v[0:1], v[116:117], s[8:9], v[0:1]
	v_add_f64 v[116:117], v[102:103], -v[96:97]
	v_fma_f64 v[2:3], v[108:109], s[14:15], v[2:3]
	v_fma_f64 v[0:1], v[108:109], s[2:3], v[0:1]
	v_add_f64 v[114:115], v[114:115], v[116:117]
	v_add_f64 v[116:117], v[92:93], -v[88:89]
	v_fma_f64 v[110:111], v[104:105], s[6:7], v[2:3]
	v_fma_f64 v[106:107], v[104:105], s[6:7], v[0:1]
	v_add_f64 v[0:1], v[100:101], v[88:89]
	v_add_f64 v[2:3], v[86:87], -v[98:99]
	v_add_f64 v[116:117], v[116:117], v[118:119]
	v_add_f64 v[0:1], v[0:1], v[92:93]
	;; [unrolled: 1-line block ×5, first 2 shown]
	v_add_f64 v[92:93], v[92:93], -v[96:97]
	v_fma_f64 v[0:1], v[0:1], -0.5, v[100:101]
	v_fma_f64 v[108:109], v[2:3], s[4:5], v[0:1]
	v_fma_f64 v[0:1], v[2:3], s[8:9], v[0:1]
	v_fma_f64 v[108:109], v[112:113], s[2:3], v[108:109]
	v_fma_f64 v[0:1], v[112:113], s[14:15], v[0:1]
	v_fma_f64 v[108:109], v[114:115], s[6:7], v[108:109]
	v_fma_f64 v[114:115], v[114:115], s[6:7], v[0:1]
	v_add_f64 v[0:1], v[88:89], v[102:103]
	v_add_f64 v[88:89], v[88:89], -v[102:103]
	v_fma_f64 v[0:1], v[0:1], -0.5, v[100:101]
	v_fma_f64 v[100:101], v[112:113], s[8:9], v[0:1]
	v_fma_f64 v[0:1], v[112:113], s[4:5], v[0:1]
	v_add_f64 v[112:113], v[98:99], -v[94:95]
	v_fma_f64 v[100:101], v[2:3], s[2:3], v[100:101]
	v_fma_f64 v[0:1], v[2:3], s[14:15], v[0:1]
	;; [unrolled: 1-line block ×4, first 2 shown]
	v_add_f64 v[0:1], v[84:85], v[86:87]
	v_add_f64 v[116:117], v[124:125], -v[104:105]
	v_add_f64 v[0:1], v[0:1], v[90:91]
	v_add_f64 v[0:1], v[0:1], v[94:95]
	;; [unrolled: 1-line block ×4, first 2 shown]
	v_fma_f64 v[0:1], v[0:1], -0.5, v[84:85]
	v_fma_f64 v[102:103], v[88:89], s[8:9], v[0:1]
	v_fma_f64 v[0:1], v[88:89], s[4:5], v[0:1]
	;; [unrolled: 1-line block ×3, first 2 shown]
	v_add_f64 v[102:103], v[86:87], -v[90:91]
	v_fma_f64 v[0:1], v[92:93], s[2:3], v[0:1]
	v_add_f64 v[102:103], v[102:103], v[112:113]
	v_fma_f64 v[112:113], v[102:103], s[6:7], v[96:97]
	v_fma_f64 v[102:103], v[102:103], s[6:7], v[0:1]
	v_add_f64 v[0:1], v[86:87], v[98:99]
	v_add_f64 v[86:87], v[90:91], -v[86:87]
	v_add_f64 v[90:91], v[94:95], -v[98:99]
	v_mul_f64 v[94:95], v[108:109], s[14:15]
	v_add_f64 v[96:97], v[124:125], v[104:105]
	v_add_f64 v[98:99], v[134:135], v[118:119]
	v_add_f64 v[118:119], v[134:135], -v[118:119]
	v_fma_f64 v[0:1], v[0:1], -0.5, v[84:85]
	v_add_f64 v[86:87], v[86:87], v[90:91]
	v_fma_f64 v[146:147], v[112:113], s[20:21], v[94:95]
	v_fma_f64 v[84:85], v[92:93], s[4:5], v[0:1]
	;; [unrolled: 1-line block ×3, first 2 shown]
	v_add_f64 v[94:95], v[122:123], v[146:147]
	v_fma_f64 v[84:85], v[88:89], s[14:15], v[84:85]
	v_fma_f64 v[0:1], v[88:89], s[2:3], v[0:1]
	;; [unrolled: 1-line block ×4, first 2 shown]
	v_mul_f64 v[0:1], v[112:113], s[2:3]
	v_fma_f64 v[138:139], v[108:109], s[20:21], v[0:1]
	v_mul_f64 v[0:1], v[90:91], s[4:5]
	v_add_f64 v[92:93], v[126:127], v[138:139]
	v_fma_f64 v[140:141], v[100:101], s[6:7], v[0:1]
	v_mul_f64 v[0:1], v[2:3], s[16:17]
	v_mul_f64 v[100:101], v[100:101], s[8:9]
	v_add_f64 v[112:113], v[126:127], -v[138:139]
	v_add_f64 v[88:89], v[136:137], v[140:141]
	v_fma_f64 v[142:143], v[86:87], s[4:5], v[0:1]
	v_mul_f64 v[86:87], v[86:87], s[16:17]
	v_mul_f64 v[0:1], v[114:115], s[18:19]
	v_fma_f64 v[148:149], v[90:91], s[6:7], v[100:101]
	v_add_f64 v[108:109], v[136:137], -v[140:141]
	v_add_f64 v[84:85], v[132:133], v[142:143]
	v_fma_f64 v[150:151], v[2:3], s[8:9], v[86:87]
	v_mul_f64 v[2:3], v[102:103], s[18:19]
	v_fma_f64 v[144:145], v[102:103], s[2:3], v[0:1]
	v_add_f64 v[90:91], v[110:111], v[148:149]
	v_add_f64 v[110:111], v[110:111], -v[148:149]
	v_add_f64 v[104:105], v[132:133], -v[142:143]
	v_add_f64 v[86:87], v[106:107], v[150:151]
	v_fma_f64 v[102:103], v[114:115], s[14:15], v[2:3]
	v_add_f64 v[0:1], v[128:129], v[144:145]
	v_add_f64 v[114:115], v[122:123], -v[146:147]
	v_add_f64 v[106:107], v[106:107], -v[150:151]
	;; [unrolled: 1-line block ×3, first 2 shown]
	v_add_f64 v[2:3], v[120:121], v[102:103]
	v_add_f64 v[102:103], v[120:121], -v[102:103]
	v_mov_b32_e32 v120, 0x12c
	v_mul_u32_u24_sdwa v121, v160, v120 dst_sel:DWORD dst_unused:UNUSED_PAD src0_sel:WORD_0 src1_sel:DWORD
	v_add_lshl_u32 v156, v121, v161, 4
	ds_write_b128 v156, v[20:23]
	ds_write_b128 v156, v[16:19] offset:480
	ds_write_b128 v156, v[12:15] offset:960
	;; [unrolled: 1-line block ×9, first 2 shown]
	v_mul_u32_u24_sdwa v4, v165, v120 dst_sel:DWORD dst_unused:UNUSED_PAD src0_sel:WORD_0 src1_sel:DWORD
	v_add_lshl_u32 v155, v4, v166, 4
	v_mad_u16 v4, 0x12c, v168, v167
	ds_write_b128 v155, v[60:63]
	ds_write_b128 v155, v[56:59] offset:480
	ds_write_b128 v155, v[52:55] offset:960
	;; [unrolled: 1-line block ×9, first 2 shown]
	v_lshlrev_b32_sdwa v169, v169, v4 dst_sel:DWORD dst_unused:UNUSED_PAD src0_sel:DWORD src1_sel:WORD_0
	ds_write_b128 v169, v[96:99]
	ds_write_b128 v169, v[92:95] offset:480
	ds_write_b128 v169, v[88:91] offset:960
	;; [unrolled: 1-line block ×9, first 2 shown]
	v_mad_u64_u32 v[110:111], null, 0x90, v192, s[10:11]
	s_waitcnt lgkmcnt(0)
	s_barrier
	buffer_gl0_inv
	ds_read_b128 v[8:11], v130
	ds_read_b128 v[0:3], v130 offset:4800
	ds_read_b128 v[4:7], v130 offset:9600
	;; [unrolled: 1-line block ×29, first 2 shown]
	v_add_co_u32 v92, vcc_lo, 0x1220, v110
	v_add_co_ci_u32_e32 v93, vcc_lo, 0, v111, vcc_lo
	v_add_co_u32 v128, vcc_lo, 0x1000, v110
	v_add_co_ci_u32_e32 v129, vcc_lo, 0, v111, vcc_lo
	s_clause 0x3
	global_load_dwordx4 v[120:123], v[128:129], off offset:544
	global_load_dwordx4 v[124:127], v[92:93], off offset:48
	;; [unrolled: 1-line block ×4, first 2 shown]
	s_waitcnt vmcnt(3) lgkmcnt(28)
	v_mul_f64 v[92:93], v[2:3], v[122:123]
	v_fma_f64 v[94:95], v[0:1], v[120:121], -v[92:93]
	buffer_store_dword v120, off, s[28:31], 0 offset:1116 ; 4-byte Folded Spill
	buffer_store_dword v121, off, s[28:31], 0 offset:1120 ; 4-byte Folded Spill
	;; [unrolled: 1-line block ×4, first 2 shown]
	s_waitcnt vmcnt(0)
	buffer_store_dword v150, off, s[28:31], 0 offset:1164 ; 4-byte Folded Spill
	buffer_store_dword v151, off, s[28:31], 0 offset:1168 ; 4-byte Folded Spill
	;; [unrolled: 1-line block ×12, first 2 shown]
	v_mul_f64 v[0:1], v[0:1], v[122:123]
	v_fma_f64 v[122:123], v[2:3], v[120:121], v[0:1]
	s_waitcnt lgkmcnt(27)
	v_mul_f64 v[0:1], v[6:7], v[152:153]
	s_waitcnt lgkmcnt(25)
	v_mul_f64 v[2:3], v[102:103], v[126:127]
	v_fma_f64 v[134:135], v[4:5], v[150:151], -v[0:1]
	v_mul_f64 v[0:1], v[4:5], v[152:153]
	v_add_co_u32 v4, vcc_lo, 0x1260, v110
	v_add_co_ci_u32_e32 v5, vcc_lo, 0, v111, vcc_lo
	v_fma_f64 v[2:3], v[104:105], v[124:125], v[2:3]
	v_fma_f64 v[96:97], v[6:7], v[150:151], v[0:1]
	global_load_dwordx4 v[150:153], v[128:129], off offset:608
	v_mul_f64 v[0:1], v[90:91], v[148:149]
	s_waitcnt vmcnt(0)
	buffer_store_dword v150, off, s[28:31], 0 offset:1228 ; 4-byte Folded Spill
	buffer_store_dword v151, off, s[28:31], 0 offset:1232 ; 4-byte Folded Spill
	;; [unrolled: 1-line block ×4, first 2 shown]
	v_fma_f64 v[120:121], v[88:89], v[146:147], -v[0:1]
	v_mul_f64 v[0:1], v[88:89], v[148:149]
	v_fma_f64 v[88:89], v[90:91], v[146:147], v[0:1]
	global_load_dwordx4 v[146:149], v[4:5], off offset:48
	v_mul_f64 v[0:1], v[104:105], v[126:127]
	s_waitcnt vmcnt(0)
	buffer_store_dword v146, off, s[28:31], 0 offset:1052 ; 4-byte Folded Spill
	buffer_store_dword v147, off, s[28:31], 0 offset:1056 ; 4-byte Folded Spill
	;; [unrolled: 1-line block ×4, first 2 shown]
	v_fma_f64 v[0:1], v[102:103], v[124:125], -v[0:1]
	global_load_dwordx4 v[102:105], v[4:5], off offset:32
	s_waitcnt vmcnt(0)
	buffer_store_dword v102, off, s[28:31], 0 offset:1068 ; 4-byte Folded Spill
	buffer_store_dword v103, off, s[28:31], 0 offset:1072 ; 4-byte Folded Spill
	;; [unrolled: 1-line block ×4, first 2 shown]
	global_load_dwordx4 v[90:93], v[4:5], off offset:16
	s_waitcnt lgkmcnt(24)
	v_mul_f64 v[4:5], v[114:115], v[152:153]
	s_waitcnt vmcnt(0)
	buffer_store_dword v90, off, s[28:31], 0 offset:1180 ; 4-byte Folded Spill
	buffer_store_dword v91, off, s[28:31], 0 offset:1184 ; 4-byte Folded Spill
	;; [unrolled: 1-line block ×4, first 2 shown]
	v_fma_f64 v[126:127], v[112:113], v[150:151], -v[4:5]
	v_mul_f64 v[4:5], v[112:113], v[152:153]
	v_fma_f64 v[6:7], v[114:115], v[150:151], v[4:5]
	global_load_dwordx4 v[112:115], v[128:129], off offset:672
	s_waitcnt vmcnt(0)
	buffer_store_dword v112, off, s[28:31], 0 offset:1260 ; 4-byte Folded Spill
	buffer_store_dword v113, off, s[28:31], 0 offset:1264 ; 4-byte Folded Spill
	;; [unrolled: 1-line block ×4, first 2 shown]
	s_waitcnt lgkmcnt(23)
	v_mul_f64 v[4:5], v[118:119], v[92:93]
	v_fma_f64 v[136:137], v[116:117], v[90:91], -v[4:5]
	v_mul_f64 v[4:5], v[116:117], v[92:93]
	v_fma_f64 v[132:133], v[118:119], v[90:91], v[4:5]
	s_waitcnt lgkmcnt(22)
	v_mul_f64 v[4:5], v[140:141], v[104:105]
	v_fma_f64 v[92:93], v[138:139], v[102:103], -v[4:5]
	v_mul_f64 v[4:5], v[138:139], v[104:105]
	v_fma_f64 v[124:125], v[140:141], v[102:103], v[4:5]
	;; [unrolled: 5-line block ×4, first 2 shown]
	v_add_co_u32 v4, vcc_lo, 0x4a60, v110
	v_add_co_ci_u32_e32 v5, vcc_lo, 0, v111, vcc_lo
	v_add_co_u32 v86, vcc_lo, 0x4800, v110
	v_add_co_ci_u32_e32 v87, vcc_lo, 0, v111, vcc_lo
	s_clause 0x1
	global_load_dwordx4 v[244:247], v[86:87], off offset:608
	global_load_dwordx4 v[112:115], v[4:5], off offset:48
	s_waitcnt vmcnt(0)
	buffer_store_dword v112, off, s[28:31], 0 offset:1340 ; 4-byte Folded Spill
	buffer_store_dword v113, off, s[28:31], 0 offset:1344 ; 4-byte Folded Spill
	;; [unrolled: 1-line block ×4, first 2 shown]
	s_clause 0x1
	global_load_dwordx4 v[116:119], v[4:5], off offset:32
	global_load_dwordx4 v[240:243], v[4:5], off offset:16
	s_waitcnt vmcnt(1)
	buffer_store_dword v116, off, s[28:31], 0 offset:1356 ; 4-byte Folded Spill
	buffer_store_dword v117, off, s[28:31], 0 offset:1360 ; 4-byte Folded Spill
	;; [unrolled: 1-line block ×4, first 2 shown]
	s_waitcnt lgkmcnt(18)
	v_mul_f64 v[4:5], v[82:83], v[246:247]
	v_fma_f64 v[84:85], v[80:81], v[244:245], -v[4:5]
	v_mul_f64 v[4:5], v[80:81], v[246:247]
	v_fma_f64 v[80:81], v[82:83], v[244:245], v[4:5]
	s_waitcnt vmcnt(0) lgkmcnt(17)
	v_mul_f64 v[4:5], v[78:79], v[242:243]
	v_fma_f64 v[82:83], v[76:77], v[240:241], -v[4:5]
	v_mul_f64 v[4:5], v[76:77], v[242:243]
	v_fma_f64 v[78:79], v[78:79], v[240:241], v[4:5]
	s_waitcnt lgkmcnt(16)
	v_mul_f64 v[4:5], v[74:75], v[118:119]
	v_fma_f64 v[76:77], v[72:73], v[116:117], -v[4:5]
	v_mul_f64 v[4:5], v[72:73], v[118:119]
	v_fma_f64 v[72:73], v[74:75], v[116:117], v[4:5]
	s_waitcnt lgkmcnt(15)
	v_mul_f64 v[4:5], v[70:71], v[114:115]
	v_fma_f64 v[74:75], v[68:69], v[112:113], -v[4:5]
	v_mul_f64 v[4:5], v[68:69], v[114:115]
	v_fma_f64 v[68:69], v[70:71], v[112:113], v[4:5]
	v_add_co_u32 v4, vcc_lo, 0x4aa0, v110
	v_add_co_ci_u32_e32 v5, vcc_lo, 0, v111, vcc_lo
	s_clause 0x4
	global_load_dwordx4 v[224:227], v[86:87], off offset:672
	global_load_dwordx4 v[236:239], v[4:5], off offset:48
	;; [unrolled: 1-line block ×5, first 2 shown]
	s_waitcnt vmcnt(4) lgkmcnt(14)
	v_mul_f64 v[4:5], v[66:67], v[226:227]
	v_fma_f64 v[70:71], v[64:65], v[224:225], -v[4:5]
	v_mul_f64 v[4:5], v[64:65], v[226:227]
	v_fma_f64 v[64:65], v[66:67], v[224:225], v[4:5]
	s_waitcnt vmcnt(1) lgkmcnt(13)
	v_mul_f64 v[4:5], v[62:63], v[230:231]
	v_fma_f64 v[66:67], v[60:61], v[228:229], -v[4:5]
	v_mul_f64 v[4:5], v[60:61], v[230:231]
	v_fma_f64 v[62:63], v[62:63], v[228:229], v[4:5]
	s_waitcnt lgkmcnt(12)
	v_mul_f64 v[4:5], v[58:59], v[234:235]
	v_fma_f64 v[60:61], v[56:57], v[232:233], -v[4:5]
	v_mul_f64 v[4:5], v[56:57], v[234:235]
	v_fma_f64 v[56:57], v[58:59], v[232:233], v[4:5]
	s_waitcnt lgkmcnt(11)
	v_mul_f64 v[4:5], v[54:55], v[238:239]
	v_fma_f64 v[58:59], v[52:53], v[236:237], -v[4:5]
	v_mul_f64 v[4:5], v[52:53], v[238:239]
	v_fma_f64 v[54:55], v[54:55], v[236:237], v[4:5]
	s_waitcnt vmcnt(0) lgkmcnt(10)
	v_mul_f64 v[4:5], v[50:51], v[222:223]
	v_fma_f64 v[52:53], v[48:49], v[220:221], -v[4:5]
	v_mul_f64 v[4:5], v[48:49], v[222:223]
	v_fma_f64 v[48:49], v[50:51], v[220:221], v[4:5]
	v_add_co_u32 v4, vcc_lo, 0x82a0, v110
	v_add_co_ci_u32_e32 v5, vcc_lo, 0, v111, vcc_lo
	v_add_co_u32 v50, vcc_lo, 0x8000, v110
	v_add_co_ci_u32_e32 v51, vcc_lo, 0, v111, vcc_lo
	s_clause 0x3
	global_load_dwordx4 v[204:207], v[50:51], off offset:672
	global_load_dwordx4 v[216:219], v[4:5], off offset:48
	;; [unrolled: 1-line block ×4, first 2 shown]
	s_waitcnt vmcnt(3) lgkmcnt(8)
	v_mul_f64 v[4:5], v[46:47], v[206:207]
	v_fma_f64 v[90:91], v[44:45], v[204:205], -v[4:5]
	v_mul_f64 v[4:5], v[44:45], v[206:207]
	v_add_f64 v[44:45], v[0:1], -v[136:137]
	v_fma_f64 v[148:149], v[46:47], v[204:205], v[4:5]
	s_waitcnt vmcnt(0) lgkmcnt(7)
	v_mul_f64 v[4:5], v[42:43], v[210:211]
	v_fma_f64 v[112:113], v[40:41], v[208:209], -v[4:5]
	v_mul_f64 v[4:5], v[40:41], v[210:211]
	v_fma_f64 v[102:103], v[42:43], v[208:209], v[4:5]
	s_waitcnt lgkmcnt(6)
	v_mul_f64 v[4:5], v[38:39], v[214:215]
	v_add_f64 v[42:43], v[136:137], -v[138:139]
	v_fma_f64 v[46:47], v[36:37], v[212:213], -v[4:5]
	v_mul_f64 v[4:5], v[36:37], v[214:215]
	v_add_f64 v[36:37], v[138:139], -v[136:137]
	v_fma_f64 v[86:87], v[38:39], v[212:213], v[4:5]
	s_waitcnt lgkmcnt(5)
	v_mul_f64 v[4:5], v[34:35], v[218:219]
	v_fma_f64 v[114:115], v[32:33], v[216:217], -v[4:5]
	v_mul_f64 v[4:5], v[32:33], v[218:219]
	v_add_co_u32 v32, vcc_lo, 0x82e0, v110
	v_add_co_ci_u32_e32 v33, vcc_lo, 0, v111, vcc_lo
	s_clause 0x4
	global_load_dwordx4 v[188:191], v[50:51], off offset:736
	global_load_dwordx4 v[200:203], v[32:33], off offset:48
	;; [unrolled: 1-line block ×5, first 2 shown]
	v_add_f64 v[50:51], v[104:105], -v[132:133]
	v_fma_f64 v[38:39], v[34:35], v[216:217], v[4:5]
	v_add_f64 v[34:35], v[2:3], -v[132:133]
	s_waitcnt vmcnt(4) lgkmcnt(4)
	v_mul_f64 v[32:33], v[30:31], v[190:191]
	v_fma_f64 v[32:33], v[28:29], v[188:189], -v[32:33]
	v_mul_f64 v[28:29], v[28:29], v[190:191]
	v_fma_f64 v[40:41], v[30:31], v[188:189], v[28:29]
	s_waitcnt vmcnt(1) lgkmcnt(3)
	v_mul_f64 v[30:31], v[26:27], v[194:195]
	v_fma_f64 v[116:117], v[24:25], v[192:193], -v[30:31]
	v_mul_f64 v[24:25], v[24:25], v[194:195]
	v_fma_f64 v[24:25], v[26:27], v[192:193], v[24:25]
	s_waitcnt lgkmcnt(2)
	v_mul_f64 v[26:27], v[22:23], v[198:199]
	v_fma_f64 v[30:31], v[20:21], v[196:197], -v[26:27]
	v_mul_f64 v[20:21], v[20:21], v[198:199]
	v_fma_f64 v[28:29], v[22:23], v[196:197], v[20:21]
	s_waitcnt lgkmcnt(1)
	v_mul_f64 v[20:21], v[18:19], v[202:203]
	v_add_f64 v[22:23], v[134:135], -v[0:1]
	v_fma_f64 v[118:119], v[16:17], v[200:201], -v[20:21]
	v_mul_f64 v[16:17], v[16:17], v[202:203]
	v_add_f64 v[20:21], v[96:97], -v[104:105]
	v_add_f64 v[22:23], v[22:23], v[36:37]
	v_add_f64 v[36:37], v[0:1], -v[134:135]
	v_fma_f64 v[110:111], v[18:19], v[200:201], v[16:17]
	s_waitcnt vmcnt(0) lgkmcnt(0)
	v_mul_f64 v[16:17], v[14:15], v[182:183]
	v_add_f64 v[36:37], v[36:37], v[42:43]
	v_fma_f64 v[26:27], v[12:13], v[180:181], -v[16:17]
	v_add_f64 v[16:17], v[0:1], v[136:137]
	v_mul_f64 v[12:13], v[12:13], v[182:183]
	v_fma_f64 v[16:17], v[16:17], -0.5, v[8:9]
	v_fma_f64 v[12:13], v[14:15], v[180:181], v[12:13]
	v_add_f64 v[14:15], v[8:9], v[134:135]
	v_fma_f64 v[18:19], v[20:21], s[4:5], v[16:17]
	v_fma_f64 v[16:17], v[20:21], s[8:9], v[16:17]
	v_add_f64 v[14:15], v[14:15], v[0:1]
	v_fma_f64 v[18:19], v[34:35], s[2:3], v[18:19]
	;; [unrolled: 3-line block ×3, first 2 shown]
	v_fma_f64 v[22:23], v[22:23], s[6:7], v[16:17]
	v_add_f64 v[16:17], v[134:135], v[138:139]
	v_add_f64 v[14:15], v[14:15], v[138:139]
	v_fma_f64 v[8:9], v[16:17], -0.5, v[8:9]
	v_fma_f64 v[16:17], v[34:35], s[8:9], v[8:9]
	v_fma_f64 v[8:9], v[34:35], s[4:5], v[8:9]
	v_add_f64 v[34:35], v[134:135], -v[138:139]
	v_add_f64 v[134:135], v[92:93], -v[140:141]
	v_fma_f64 v[16:17], v[20:21], s[2:3], v[16:17]
	v_fma_f64 v[8:9], v[20:21], s[14:15], v[8:9]
	;; [unrolled: 1-line block ×3, first 2 shown]
	v_add_f64 v[16:17], v[10:11], v[96:97]
	v_fma_f64 v[8:9], v[36:37], s[6:7], v[8:9]
	v_add_f64 v[16:17], v[16:17], v[2:3]
	v_add_f64 v[16:17], v[16:17], v[132:133]
	;; [unrolled: 1-line block ×4, first 2 shown]
	v_fma_f64 v[20:21], v[16:17], -0.5, v[10:11]
	v_fma_f64 v[16:17], v[34:35], s[8:9], v[20:21]
	v_fma_f64 v[0:1], v[44:45], s[14:15], v[16:17]
	v_add_f64 v[16:17], v[96:97], -v[2:3]
	v_add_f64 v[2:3], v[2:3], -v[96:97]
	v_add_f64 v[50:51], v[16:17], v[50:51]
	v_fma_f64 v[16:17], v[50:51], s[6:7], v[0:1]
	v_fma_f64 v[0:1], v[34:35], s[4:5], v[20:21]
	v_add_f64 v[20:21], v[96:97], v[104:105]
	v_add_f64 v[96:97], v[6:7], -v[124:125]
	v_fma_f64 v[0:1], v[44:45], s[2:3], v[0:1]
	v_fma_f64 v[10:11], v[20:21], -0.5, v[10:11]
	v_fma_f64 v[0:1], v[50:51], s[6:7], v[0:1]
	v_fma_f64 v[20:21], v[44:45], s[4:5], v[10:11]
	;; [unrolled: 1-line block ×3, first 2 shown]
	v_add_f64 v[50:51], v[132:133], -v[104:105]
	v_add_f64 v[44:45], v[88:89], -v[128:129]
	;; [unrolled: 1-line block ×4, first 2 shown]
	v_fma_f64 v[20:21], v[34:35], s[14:15], v[20:21]
	v_fma_f64 v[10:11], v[34:35], s[2:3], v[10:11]
	v_add_f64 v[34:35], v[126:127], v[92:93]
	v_add_f64 v[2:3], v[2:3], v[50:51]
	v_add_f64 v[104:105], v[104:105], v[132:133]
	v_add_f64 v[132:133], v[126:127], -v[120:121]
	v_fma_f64 v[34:35], v[34:35], -0.5, v[94:95]
	v_fma_f64 v[20:21], v[2:3], s[6:7], v[20:21]
	v_fma_f64 v[2:3], v[2:3], s[6:7], v[10:11]
	v_add_f64 v[10:11], v[94:95], v[120:121]
	v_add_f64 v[132:133], v[132:133], v[134:135]
	v_add_f64 v[134:135], v[128:129], -v[124:125]
	v_fma_f64 v[50:51], v[44:45], s[4:5], v[34:35]
	v_fma_f64 v[34:35], v[44:45], s[8:9], v[34:35]
	v_add_f64 v[10:11], v[10:11], v[126:127]
	v_fma_f64 v[50:51], v[96:97], s[2:3], v[50:51]
	v_fma_f64 v[34:35], v[96:97], s[14:15], v[34:35]
	v_add_f64 v[10:11], v[10:11], v[92:93]
	v_add_f64 v[92:93], v[126:127], -v[92:93]
	v_fma_f64 v[50:51], v[104:105], s[6:7], v[50:51]
	v_fma_f64 v[34:35], v[104:105], s[6:7], v[34:35]
	v_add_f64 v[104:105], v[120:121], v[140:141]
	v_add_f64 v[120:121], v[120:121], -v[140:141]
	v_add_f64 v[10:11], v[10:11], v[140:141]
	v_fma_f64 v[94:95], v[104:105], -0.5, v[94:95]
	v_fma_f64 v[104:105], v[96:97], s[8:9], v[94:95]
	v_fma_f64 v[94:95], v[96:97], s[4:5], v[94:95]
	v_add_f64 v[96:97], v[6:7], v[124:125]
	v_fma_f64 v[104:105], v[44:45], s[2:3], v[104:105]
	v_fma_f64 v[44:45], v[44:45], s[14:15], v[94:95]
	v_fma_f64 v[96:97], v[96:97], -0.5, v[122:123]
	v_add_f64 v[94:95], v[122:123], v[88:89]
	v_fma_f64 v[104:105], v[132:133], s[6:7], v[104:105]
	v_fma_f64 v[44:45], v[132:133], s[6:7], v[44:45]
	;; [unrolled: 1-line block ×4, first 2 shown]
	v_add_f64 v[94:95], v[94:95], v[6:7]
	v_fma_f64 v[126:127], v[92:93], s[14:15], v[132:133]
	v_add_f64 v[132:133], v[88:89], -v[6:7]
	v_fma_f64 v[96:97], v[92:93], s[2:3], v[96:97]
	v_add_f64 v[6:7], v[6:7], -v[88:89]
	v_add_f64 v[94:95], v[94:95], v[124:125]
	v_add_f64 v[132:133], v[132:133], v[134:135]
	;; [unrolled: 1-line block ×3, first 2 shown]
	v_fma_f64 v[134:135], v[132:133], s[6:7], v[126:127]
	v_add_f64 v[126:127], v[88:89], v[128:129]
	v_add_f64 v[88:89], v[124:125], -v[128:129]
	v_fma_f64 v[96:97], v[132:133], s[6:7], v[96:97]
	v_add_f64 v[124:125], v[14:15], v[10:11]
	v_fma_f64 v[122:123], v[126:127], -0.5, v[122:123]
	v_add_f64 v[6:7], v[6:7], v[88:89]
	v_fma_f64 v[126:127], v[92:93], s[4:5], v[122:123]
	v_fma_f64 v[92:93], v[92:93], s[8:9], v[122:123]
	v_mul_f64 v[122:123], v[44:45], s[16:17]
	v_fma_f64 v[126:127], v[120:121], s[14:15], v[126:127]
	v_fma_f64 v[92:93], v[120:121], s[2:3], v[92:93]
	;; [unrolled: 1-line block ×4, first 2 shown]
	v_mul_f64 v[92:93], v[134:135], s[2:3]
	v_mul_f64 v[126:127], v[34:35], s[18:19]
	;; [unrolled: 1-line block ×3, first 2 shown]
	v_fma_f64 v[122:123], v[6:7], s[4:5], v[122:123]
	v_mul_f64 v[6:7], v[6:7], s[16:17]
	v_fma_f64 v[92:93], v[50:51], s[20:21], v[92:93]
	v_fma_f64 v[128:129], v[96:97], s[2:3], v[126:127]
	v_add_f64 v[126:127], v[36:37], v[94:95]
	v_add_f64 v[36:37], v[36:37], -v[94:95]
	v_mul_f64 v[50:51], v[50:51], s[14:15]
	v_fma_f64 v[120:121], v[104:105], s[6:7], v[120:121]
	v_add_f64 v[140:141], v[8:9], v[122:123]
	v_fma_f64 v[6:7], v[44:45], s[8:9], v[6:7]
	v_mul_f64 v[44:45], v[96:97], s[18:19]
	v_add_f64 v[132:133], v[18:19], v[92:93]
	v_mul_f64 v[104:105], v[104:105], s[8:9]
	v_add_f64 v[144:145], v[22:23], v[128:129]
	v_fma_f64 v[50:51], v[134:135], s[20:21], v[50:51]
	v_add_f64 v[136:137], v[42:43], v[120:121]
	v_add_f64 v[142:143], v[2:3], v[6:7]
	v_fma_f64 v[96:97], v[34:35], s[14:15], v[44:45]
	v_add_f64 v[34:35], v[14:15], -v[10:11]
	v_add_f64 v[14:15], v[18:19], -v[92:93]
	;; [unrolled: 1-line block ×4, first 2 shown]
	v_fma_f64 v[88:89], v[88:89], s[6:7], v[104:105]
	v_add_f64 v[44:45], v[2:3], -v[6:7]
	v_add_f64 v[2:3], v[78:79], -v[54:55]
	;; [unrolled: 1-line block ×6, first 2 shown]
	v_add_f64 v[134:135], v[16:17], v[50:51]
	v_add_f64 v[16:17], v[16:17], -v[50:51]
	v_add_f64 v[50:51], v[78:79], -v[68:69]
	v_add_f64 v[146:147], v[0:1], v[96:97]
	v_add_f64 v[122:123], v[0:1], -v[96:97]
	v_add_f64 v[0:1], v[106:107], v[82:83]
	v_add_f64 v[138:139], v[20:21], v[88:89]
	v_add_f64 v[20:21], v[20:21], -v[88:89]
	v_add_f64 v[10:11], v[10:11], v[22:23]
	v_add_f64 v[22:23], v[66:67], -v[58:59]
	v_add_f64 v[0:1], v[0:1], v[74:75]
	v_add_f64 v[0:1], v[0:1], v[66:67]
	;; [unrolled: 1-line block ×4, first 2 shown]
	v_fma_f64 v[0:1], v[0:1], -0.5, v[106:107]
	v_fma_f64 v[6:7], v[2:3], s[4:5], v[0:1]
	v_fma_f64 v[0:1], v[2:3], s[8:9], v[0:1]
	;; [unrolled: 1-line block ×6, first 2 shown]
	v_add_f64 v[0:1], v[82:83], v[58:59]
	v_add_f64 v[10:11], v[74:75], -v[82:83]
	v_fma_f64 v[0:1], v[0:1], -0.5, v[106:107]
	v_add_f64 v[10:11], v[10:11], v[22:23]
	v_add_f64 v[22:23], v[74:75], -v[66:67]
	v_fma_f64 v[6:7], v[8:9], s[8:9], v[0:1]
	v_fma_f64 v[0:1], v[8:9], s[4:5], v[0:1]
	v_add_f64 v[8:9], v[82:83], -v[58:59]
	v_add_f64 v[58:59], v[54:55], -v[62:63]
	;; [unrolled: 1-line block ×3, first 2 shown]
	v_fma_f64 v[6:7], v[2:3], s[2:3], v[6:7]
	v_fma_f64 v[0:1], v[2:3], s[14:15], v[0:1]
	v_add_f64 v[2:3], v[108:109], v[78:79]
	v_add_f64 v[50:51], v[50:51], v[58:59]
	v_add_f64 v[58:59], v[68:69], -v[78:79]
	v_fma_f64 v[96:97], v[10:11], s[6:7], v[6:7]
	v_add_f64 v[6:7], v[68:69], v[62:63]
	v_fma_f64 v[4:5], v[10:11], s[6:7], v[0:1]
	v_add_f64 v[2:3], v[2:3], v[68:69]
	v_fma_f64 v[6:7], v[6:7], -0.5, v[108:109]
	v_add_f64 v[2:3], v[2:3], v[62:63]
	v_fma_f64 v[10:11], v[8:9], s[8:9], v[6:7]
	v_fma_f64 v[6:7], v[8:9], s[4:5], v[6:7]
	v_add_f64 v[2:3], v[2:3], v[54:55]
	v_fma_f64 v[10:11], v[22:23], s[14:15], v[10:11]
	v_fma_f64 v[6:7], v[22:23], s[2:3], v[6:7]
	;; [unrolled: 1-line block ×3, first 2 shown]
	v_add_f64 v[10:11], v[78:79], v[54:55]
	v_fma_f64 v[6:7], v[50:51], s[6:7], v[6:7]
	v_add_f64 v[54:55], v[62:63], -v[54:55]
	v_add_f64 v[62:63], v[52:53], -v[60:61]
	v_fma_f64 v[10:11], v[10:11], -0.5, v[108:109]
	v_add_f64 v[54:55], v[58:59], v[54:55]
	v_add_f64 v[58:59], v[76:77], -v[70:71]
	v_fma_f64 v[50:51], v[22:23], s[4:5], v[10:11]
	v_fma_f64 v[10:11], v[22:23], s[8:9], v[10:11]
	v_add_f64 v[58:59], v[58:59], v[62:63]
	v_add_f64 v[62:63], v[70:71], -v[76:77]
	v_fma_f64 v[50:51], v[8:9], s[14:15], v[50:51]
	v_fma_f64 v[8:9], v[8:9], s[2:3], v[10:11]
	v_add_f64 v[10:11], v[72:73], -v[48:49]
	v_add_f64 v[62:63], v[62:63], v[82:83]
	v_fma_f64 v[66:67], v[54:55], s[6:7], v[50:51]
	v_fma_f64 v[22:23], v[54:55], s[6:7], v[8:9]
	v_add_f64 v[8:9], v[84:85], v[76:77]
	v_add_f64 v[54:55], v[64:65], -v[56:57]
	v_add_f64 v[8:9], v[8:9], v[70:71]
	v_add_f64 v[8:9], v[8:9], v[60:61]
	;; [unrolled: 1-line block ×4, first 2 shown]
	v_fma_f64 v[8:9], v[8:9], -0.5, v[84:85]
	v_fma_f64 v[50:51], v[10:11], s[4:5], v[8:9]
	v_fma_f64 v[8:9], v[10:11], s[8:9], v[8:9]
	;; [unrolled: 1-line block ×6, first 2 shown]
	v_add_f64 v[8:9], v[76:77], v[52:53]
	v_add_f64 v[52:53], v[76:77], -v[52:53]
	v_fma_f64 v[8:9], v[8:9], -0.5, v[84:85]
	v_fma_f64 v[58:59], v[54:55], s[8:9], v[8:9]
	v_fma_f64 v[8:9], v[54:55], s[4:5], v[8:9]
	;; [unrolled: 1-line block ×6, first 2 shown]
	v_add_f64 v[8:9], v[80:81], v[72:73]
	v_add_f64 v[58:59], v[70:71], -v[60:61]
	v_add_f64 v[60:61], v[72:73], -v[64:65]
	;; [unrolled: 1-line block ×3, first 2 shown]
	v_add_f64 v[8:9], v[8:9], v[64:65]
	v_add_f64 v[60:61], v[60:61], v[62:63]
	v_add_f64 v[62:63], v[64:65], -v[72:73]
	v_add_f64 v[8:9], v[8:9], v[56:57]
	v_add_f64 v[84:85], v[8:9], v[48:49]
	v_add_f64 v[8:9], v[64:65], v[56:57]
	v_fma_f64 v[8:9], v[8:9], -0.5, v[80:81]
	v_fma_f64 v[54:55], v[52:53], s[8:9], v[8:9]
	v_fma_f64 v[8:9], v[52:53], s[4:5], v[8:9]
	;; [unrolled: 1-line block ×6, first 2 shown]
	v_add_f64 v[8:9], v[72:73], v[48:49]
	v_add_f64 v[48:49], v[56:57], -v[48:49]
	v_fma_f64 v[8:9], v[8:9], -0.5, v[80:81]
	v_add_f64 v[48:49], v[62:63], v[48:49]
	v_add_f64 v[62:63], v[2:3], v[84:85]
	v_add_f64 v[80:81], v[88:89], -v[68:69]
	v_fma_f64 v[60:61], v[58:59], s[4:5], v[8:9]
	v_fma_f64 v[8:9], v[58:59], s[8:9], v[8:9]
	;; [unrolled: 1-line block ×6, first 2 shown]
	v_mul_f64 v[8:9], v[54:55], s[2:3]
	v_add_f64 v[60:61], v[88:89], v[68:69]
	v_add_f64 v[88:89], v[116:117], -v[118:119]
	v_fma_f64 v[76:77], v[50:51], s[20:21], v[8:9]
	v_mul_f64 v[50:51], v[50:51], s[14:15]
	v_mul_f64 v[8:9], v[64:65], s[4:5]
	v_add_f64 v[56:57], v[92:93], v[76:77]
	v_fma_f64 v[128:129], v[54:55], s[20:21], v[50:51]
	v_mul_f64 v[50:51], v[82:83], s[8:9]
	v_fma_f64 v[104:105], v[82:83], s[6:7], v[8:9]
	v_mul_f64 v[8:9], v[10:11], s[16:17]
	v_add_f64 v[82:83], v[2:3], -v[84:85]
	v_add_f64 v[2:3], v[102:103], -v[110:111]
	;; [unrolled: 1-line block ×5, first 2 shown]
	v_add_f64 v[58:59], v[74:75], v[128:129]
	v_fma_f64 v[159:160], v[64:65], s[6:7], v[50:51]
	v_mul_f64 v[50:51], v[72:73], s[16:17]
	v_fma_f64 v[106:107], v[72:73], s[4:5], v[8:9]
	v_mul_f64 v[8:9], v[78:79], s[18:19]
	v_add_f64 v[52:53], v[96:97], v[104:105]
	v_add_f64 v[72:73], v[96:97], -v[104:105]
	v_add_f64 v[54:55], v[66:67], v[159:160]
	v_fma_f64 v[0:1], v[10:11], s[8:9], v[50:51]
	v_mul_f64 v[10:11], v[70:71], s[18:19]
	v_fma_f64 v[108:109], v[70:71], s[2:3], v[8:9]
	v_add_f64 v[48:49], v[4:5], v[106:107]
	v_add_f64 v[68:69], v[4:5], -v[106:107]
	v_add_f64 v[50:51], v[22:23], v[0:1]
	v_add_f64 v[70:71], v[22:23], -v[0:1]
	v_add_f64 v[0:1], v[98:99], v[112:113]
	v_fma_f64 v[157:158], v[78:79], s[14:15], v[10:11]
	v_add_f64 v[78:79], v[74:75], -v[128:129]
	v_add_f64 v[74:75], v[66:67], -v[159:160]
	;; [unrolled: 1-line block ×3, first 2 shown]
	v_add_f64 v[8:9], v[94:95], v[108:109]
	v_add_f64 v[64:65], v[94:95], -v[108:109]
	v_add_f64 v[94:95], v[26:27], -v[30:31]
	v_add_f64 v[0:1], v[0:1], v[114:115]
	v_add_f64 v[10:11], v[6:7], v[157:158]
	v_add_f64 v[66:67], v[6:7], -v[157:158]
	v_add_f64 v[6:7], v[38:39], -v[24:25]
	v_add_f64 v[22:23], v[22:23], v[84:85]
	v_add_f64 v[84:85], v[114:115], -v[112:113]
	v_add_f64 v[0:1], v[0:1], v[116:117]
	v_add_f64 v[84:85], v[84:85], v[88:89]
	v_add_f64 v[88:89], v[102:103], -v[38:39]
	v_add_f64 v[104:105], v[0:1], v[118:119]
	v_add_f64 v[0:1], v[114:115], v[116:117]
	;; [unrolled: 1-line block ×3, first 2 shown]
	v_add_f64 v[92:93], v[46:47], -v[32:33]
	v_fma_f64 v[0:1], v[0:1], -0.5, v[98:99]
	v_add_f64 v[92:93], v[92:93], v[94:95]
	v_fma_f64 v[4:5], v[2:3], s[4:5], v[0:1]
	v_fma_f64 v[0:1], v[2:3], s[8:9], v[0:1]
	;; [unrolled: 1-line block ×5, first 2 shown]
	v_add_f64 v[4:5], v[112:113], v[118:119]
	v_fma_f64 v[0:1], v[22:23], s[6:7], v[0:1]
	v_fma_f64 v[4:5], v[4:5], -0.5, v[98:99]
	v_fma_f64 v[22:23], v[6:7], s[8:9], v[4:5]
	v_fma_f64 v[4:5], v[6:7], s[4:5], v[4:5]
	v_add_f64 v[6:7], v[112:113], -v[118:119]
	v_fma_f64 v[22:23], v[2:3], s[2:3], v[22:23]
	v_fma_f64 v[2:3], v[2:3], s[14:15], v[4:5]
	v_add_f64 v[4:5], v[100:101], v[102:103]
	v_fma_f64 v[128:129], v[84:85], s[6:7], v[22:23]
	v_fma_f64 v[2:3], v[84:85], s[6:7], v[2:3]
	v_add_f64 v[4:5], v[4:5], v[38:39]
	v_add_f64 v[84:85], v[114:115], -v[116:117]
	v_add_f64 v[4:5], v[4:5], v[24:25]
	v_add_f64 v[157:158], v[4:5], v[110:111]
	;; [unrolled: 1-line block ×3, first 2 shown]
	v_add_f64 v[38:39], v[38:39], -v[102:103]
	v_add_f64 v[24:25], v[24:25], -v[110:111]
	v_fma_f64 v[4:5], v[4:5], -0.5, v[100:101]
	v_add_f64 v[24:25], v[38:39], v[24:25]
	v_fma_f64 v[22:23], v[6:7], s[8:9], v[4:5]
	v_fma_f64 v[4:5], v[6:7], s[4:5], v[4:5]
	;; [unrolled: 1-line block ×6, first 2 shown]
	v_add_f64 v[4:5], v[102:103], v[110:111]
	v_fma_f64 v[4:5], v[4:5], -0.5, v[100:101]
	v_fma_f64 v[88:89], v[84:85], s[4:5], v[4:5]
	v_fma_f64 v[4:5], v[84:85], s[8:9], v[4:5]
	;; [unrolled: 1-line block ×4, first 2 shown]
	v_add_f64 v[6:7], v[86:87], -v[12:13]
	v_fma_f64 v[102:103], v[24:25], s[6:7], v[88:89]
	v_fma_f64 v[24:25], v[24:25], s[6:7], v[4:5]
	v_add_f64 v[4:5], v[90:91], v[46:47]
	v_add_f64 v[88:89], v[40:41], -v[28:29]
	v_add_f64 v[4:5], v[4:5], v[32:33]
	v_add_f64 v[4:5], v[4:5], v[30:31]
	;; [unrolled: 1-line block ×5, first 2 shown]
	v_fma_f64 v[4:5], v[4:5], -0.5, v[90:91]
	v_add_f64 v[116:117], v[104:105], -v[38:39]
	v_fma_f64 v[84:85], v[6:7], s[4:5], v[4:5]
	v_fma_f64 v[4:5], v[6:7], s[8:9], v[4:5]
	;; [unrolled: 1-line block ×6, first 2 shown]
	v_add_f64 v[4:5], v[46:47], v[26:27]
	v_add_f64 v[92:93], v[30:31], -v[26:27]
	v_add_f64 v[26:27], v[46:47], -v[26:27]
	;; [unrolled: 1-line block ×3, first 2 shown]
	v_fma_f64 v[4:5], v[4:5], -0.5, v[90:91]
	v_add_f64 v[90:91], v[32:33], -v[46:47]
	v_fma_f64 v[84:85], v[88:89], s[8:9], v[4:5]
	v_fma_f64 v[4:5], v[88:89], s[4:5], v[4:5]
	v_add_f64 v[90:91], v[90:91], v[92:93]
	v_fma_f64 v[84:85], v[6:7], s[2:3], v[84:85]
	v_fma_f64 v[4:5], v[6:7], s[14:15], v[4:5]
	;; [unrolled: 1-line block ×4, first 2 shown]
	v_add_f64 v[4:5], v[148:149], v[86:87]
	v_add_f64 v[84:85], v[12:13], -v[28:29]
	v_add_f64 v[4:5], v[4:5], v[40:41]
	v_add_f64 v[4:5], v[4:5], v[28:29]
	;; [unrolled: 1-line block ×5, first 2 shown]
	v_fma_f64 v[4:5], v[4:5], -0.5, v[148:149]
	v_fma_f64 v[46:47], v[26:27], s[8:9], v[4:5]
	v_fma_f64 v[4:5], v[26:27], s[4:5], v[4:5]
	;; [unrolled: 1-line block ×3, first 2 shown]
	v_add_f64 v[46:47], v[86:87], -v[40:41]
	v_fma_f64 v[4:5], v[30:31], s[2:3], v[4:5]
	v_add_f64 v[40:41], v[40:41], -v[86:87]
	v_add_f64 v[46:47], v[46:47], v[84:85]
	v_fma_f64 v[32:33], v[46:47], s[6:7], v[32:33]
	v_fma_f64 v[46:47], v[46:47], s[6:7], v[4:5]
	v_add_f64 v[4:5], v[86:87], v[12:13]
	v_add_f64 v[12:13], v[28:29], -v[12:13]
	v_mul_f64 v[86:87], v[94:95], s[14:15]
	v_fma_f64 v[4:5], v[4:5], -0.5, v[148:149]
	v_add_f64 v[12:13], v[40:41], v[12:13]
	v_fma_f64 v[84:85], v[30:31], s[4:5], v[4:5]
	v_fma_f64 v[4:5], v[30:31], s[8:9], v[4:5]
	;; [unrolled: 1-line block ×6, first 2 shown]
	v_mul_f64 v[4:5], v[32:33], s[2:3]
	v_fma_f64 v[32:33], v[32:33], s[20:21], v[86:87]
	v_mul_f64 v[86:87], v[110:111], s[8:9]
	v_fma_f64 v[26:27], v[94:95], s[20:21], v[4:5]
	;; [unrolled: 2-line block ×3, first 2 shown]
	v_add_f64 v[94:95], v[106:107], v[32:33]
	v_add_f64 v[92:93], v[108:109], v[26:27]
	v_fma_f64 v[30:31], v[110:111], s[6:7], v[4:5]
	v_mul_f64 v[4:5], v[6:7], s[16:17]
	v_add_f64 v[90:91], v[102:103], v[28:29]
	v_add_f64 v[112:113], v[108:109], -v[26:27]
	v_add_f64 v[110:111], v[102:103], -v[28:29]
	v_add_f64 v[88:89], v[128:129], v[30:31]
	v_fma_f64 v[40:41], v[12:13], s[4:5], v[4:5]
	v_mul_f64 v[12:13], v[12:13], s[16:17]
	v_mul_f64 v[4:5], v[100:101], s[18:19]
	v_add_f64 v[108:109], v[128:129], -v[30:31]
	v_add_f64 v[84:85], v[2:3], v[40:41]
	v_fma_f64 v[12:13], v[6:7], s[8:9], v[12:13]
	v_mul_f64 v[6:7], v[46:47], s[18:19]
	v_fma_f64 v[118:119], v[46:47], s[2:3], v[4:5]
	v_add_f64 v[104:105], v[2:3], -v[40:41]
	v_add_f64 v[86:87], v[24:25], v[12:13]
	v_fma_f64 v[46:47], v[100:101], s[14:15], v[6:7]
	v_add_f64 v[4:5], v[0:1], v[118:119]
	v_add_f64 v[100:101], v[0:1], -v[118:119]
	v_add_f64 v[118:119], v[157:158], -v[114:115]
	;; [unrolled: 1-line block ×4, first 2 shown]
	v_add_f64 v[6:7], v[22:23], v[46:47]
	v_add_f64 v[102:103], v[22:23], -v[46:47]
	ds_write_b128 v130, v[124:127]
	ds_write_b128 v130, v[132:135] offset:4800
	ds_write_b128 v130, v[136:139] offset:9600
	;; [unrolled: 1-line block ×29, first 2 shown]
	v_add_co_u32 v6, vcc_lo, 0xbb80, v131
	v_add_co_ci_u32_e32 v7, vcc_lo, 0, v162, vcc_lo
	v_add_co_u32 v4, vcc_lo, 0xb800, v131
	v_add_co_ci_u32_e32 v5, vcc_lo, 0, v162, vcc_lo
	s_waitcnt lgkmcnt(0)
	s_waitcnt_vscnt null, 0x0
	s_barrier
	buffer_gl0_inv
	global_load_dwordx4 v[8:11], v[4:5], off offset:896
	ds_read_b128 v[0:3], v130
	s_waitcnt vmcnt(0) lgkmcnt(0)
	v_mul_f64 v[4:5], v[2:3], v[10:11]
	v_fma_f64 v[12:13], v[0:1], v[8:9], -v[4:5]
	v_mul_f64 v[0:1], v[0:1], v[10:11]
	v_fma_f64 v[14:15], v[2:3], v[8:9], v[0:1]
	v_add_co_u32 v0, vcc_lo, 0xc800, v131
	v_add_co_ci_u32_e32 v1, vcc_lo, 0, v162, vcc_lo
	ds_read_b128 v[2:5], v130 offset:4800
	global_load_dwordx4 v[8:11], v[0:1], off offset:1600
	ds_write_b128 v130, v[12:15]
	s_waitcnt vmcnt(0) lgkmcnt(1)
	v_mul_f64 v[12:13], v[4:5], v[10:11]
	v_fma_f64 v[12:13], v[2:3], v[8:9], -v[12:13]
	v_mul_f64 v[2:3], v[2:3], v[10:11]
	v_fma_f64 v[14:15], v[4:5], v[8:9], v[2:3]
	v_add_co_u32 v8, vcc_lo, 0xe000, v131
	v_add_co_ci_u32_e32 v9, vcc_lo, 0, v162, vcc_lo
	ds_read_b128 v[2:5], v130 offset:9600
	ds_write_b128 v130, v[12:15] offset:4800
	global_load_dwordx4 v[10:13], v[8:9], off offset:256
	s_waitcnt vmcnt(0) lgkmcnt(1)
	v_mul_f64 v[14:15], v[4:5], v[12:13]
	v_fma_f64 v[14:15], v[2:3], v[10:11], -v[14:15]
	v_mul_f64 v[2:3], v[2:3], v[12:13]
	v_fma_f64 v[16:17], v[4:5], v[10:11], v[2:3]
	v_add_co_u32 v10, vcc_lo, 0xf000, v131
	v_add_co_ci_u32_e32 v11, vcc_lo, 0, v162, vcc_lo
	ds_read_b128 v[2:5], v130 offset:14400
	global_load_dwordx4 v[10:13], v[10:11], off offset:960
	ds_write_b128 v130, v[14:17] offset:9600
	s_waitcnt vmcnt(0) lgkmcnt(1)
	v_mul_f64 v[14:15], v[4:5], v[12:13]
	v_fma_f64 v[14:15], v[2:3], v[10:11], -v[14:15]
	v_mul_f64 v[2:3], v[2:3], v[12:13]
	v_fma_f64 v[16:17], v[4:5], v[10:11], v[2:3]
	v_add_co_u32 v2, vcc_lo, 0x10000, v131
	v_add_co_ci_u32_e32 v3, vcc_lo, 0, v162, vcc_lo
	ds_read_b128 v[10:13], v130 offset:19200
	ds_write_b128 v130, v[14:17] offset:14400
	global_load_dwordx4 v[14:17], v[2:3], off offset:1664
	s_waitcnt vmcnt(0) lgkmcnt(1)
	v_mul_f64 v[4:5], v[12:13], v[16:17]
	v_fma_f64 v[18:19], v[10:11], v[14:15], -v[4:5]
	v_mul_f64 v[4:5], v[10:11], v[16:17]
	v_add_co_u32 v10, vcc_lo, 0x11800, v131
	v_add_co_ci_u32_e32 v11, vcc_lo, 0, v162, vcc_lo
	v_fma_f64 v[20:21], v[12:13], v[14:15], v[4:5]
	ds_read_b128 v[12:15], v130 offset:24000
	ds_write_b128 v130, v[18:21] offset:19200
	global_load_dwordx4 v[16:19], v[10:11], off offset:320
	s_waitcnt vmcnt(0) lgkmcnt(1)
	v_mul_f64 v[4:5], v[14:15], v[18:19]
	v_fma_f64 v[20:21], v[12:13], v[16:17], -v[4:5]
	v_mul_f64 v[4:5], v[12:13], v[18:19]
	v_fma_f64 v[22:23], v[14:15], v[16:17], v[4:5]
	v_add_co_u32 v4, vcc_lo, 0x12800, v131
	v_add_co_ci_u32_e32 v5, vcc_lo, 0, v162, vcc_lo
	ds_read_b128 v[12:15], v130 offset:28800
	global_load_dwordx4 v[16:19], v[4:5], off offset:1024
	ds_write_b128 v130, v[20:23] offset:24000
	s_waitcnt vmcnt(0) lgkmcnt(1)
	v_mul_f64 v[4:5], v[14:15], v[18:19]
	v_fma_f64 v[20:21], v[12:13], v[16:17], -v[4:5]
	v_mul_f64 v[4:5], v[12:13], v[18:19]
	v_fma_f64 v[22:23], v[14:15], v[16:17], v[4:5]
	v_add_co_u32 v4, vcc_lo, 0x13800, v131
	v_add_co_ci_u32_e32 v5, vcc_lo, 0, v162, vcc_lo
	ds_read_b128 v[12:15], v130 offset:33600
	global_load_dwordx4 v[16:19], v[4:5], off offset:1728
	ds_write_b128 v130, v[20:23] offset:28800
	s_waitcnt vmcnt(0) lgkmcnt(1)
	v_mul_f64 v[20:21], v[14:15], v[18:19]
	v_fma_f64 v[20:21], v[12:13], v[16:17], -v[20:21]
	v_mul_f64 v[12:13], v[12:13], v[18:19]
	v_fma_f64 v[22:23], v[14:15], v[16:17], v[12:13]
	v_add_co_u32 v12, vcc_lo, 0x15000, v131
	v_add_co_ci_u32_e32 v13, vcc_lo, 0, v162, vcc_lo
	ds_read_b128 v[14:17], v130 offset:38400
	ds_write_b128 v130, v[20:23] offset:33600
	global_load_dwordx4 v[18:21], v[12:13], off offset:384
	s_waitcnt vmcnt(0) lgkmcnt(1)
	v_mul_f64 v[22:23], v[16:17], v[20:21]
	v_fma_f64 v[22:23], v[14:15], v[18:19], -v[22:23]
	v_mul_f64 v[14:15], v[14:15], v[20:21]
	v_fma_f64 v[24:25], v[16:17], v[18:19], v[14:15]
	v_add_co_u32 v18, vcc_lo, 0x16000, v131
	v_add_co_ci_u32_e32 v19, vcc_lo, 0, v162, vcc_lo
	ds_read_b128 v[14:17], v130 offset:43200
	global_load_dwordx4 v[18:21], v[18:19], off offset:1088
	ds_write_b128 v130, v[22:25] offset:38400
	s_waitcnt vmcnt(0) lgkmcnt(1)
	v_mul_f64 v[22:23], v[16:17], v[20:21]
	v_fma_f64 v[22:23], v[14:15], v[18:19], -v[22:23]
	v_mul_f64 v[14:15], v[14:15], v[20:21]
	v_fma_f64 v[24:25], v[16:17], v[18:19], v[14:15]
	global_load_dwordx4 v[18:21], v[6:7], off offset:1600
	ds_read_b128 v[14:17], v130 offset:1600
	ds_write_b128 v130, v[22:25] offset:43200
	s_waitcnt vmcnt(0) lgkmcnt(1)
	v_mul_f64 v[6:7], v[16:17], v[20:21]
	v_fma_f64 v[22:23], v[14:15], v[18:19], -v[6:7]
	v_mul_f64 v[6:7], v[14:15], v[20:21]
	v_fma_f64 v[24:25], v[16:17], v[18:19], v[6:7]
	v_add_co_u32 v6, vcc_lo, 0xd000, v131
	v_add_co_ci_u32_e32 v7, vcc_lo, 0, v162, vcc_lo
	ds_read_b128 v[14:17], v130 offset:6400
	global_load_dwordx4 v[18:21], v[6:7], off offset:1152
	ds_write_b128 v130, v[22:25] offset:1600
	s_waitcnt vmcnt(0) lgkmcnt(1)
	v_mul_f64 v[6:7], v[16:17], v[20:21]
	v_fma_f64 v[22:23], v[14:15], v[18:19], -v[6:7]
	v_mul_f64 v[6:7], v[14:15], v[20:21]
	v_fma_f64 v[24:25], v[16:17], v[18:19], v[6:7]
	global_load_dwordx4 v[6:9], v[8:9], off offset:1856
	ds_read_b128 v[14:17], v130 offset:11200
	ds_write_b128 v130, v[22:25] offset:6400
	s_waitcnt vmcnt(0) lgkmcnt(1)
	v_mul_f64 v[18:19], v[16:17], v[8:9]
	v_mul_f64 v[8:9], v[14:15], v[8:9]
	v_fma_f64 v[18:19], v[14:15], v[6:7], -v[18:19]
	v_add_co_u32 v14, vcc_lo, 0xf800, v131
	v_add_co_ci_u32_e32 v15, vcc_lo, 0, v162, vcc_lo
	v_fma_f64 v[20:21], v[16:17], v[6:7], v[8:9]
	ds_read_b128 v[6:9], v130 offset:16000
	global_load_dwordx4 v[14:17], v[14:15], off offset:512
	ds_write_b128 v130, v[18:21] offset:11200
	s_waitcnt vmcnt(0) lgkmcnt(1)
	v_mul_f64 v[18:19], v[8:9], v[16:17]
	v_fma_f64 v[18:19], v[6:7], v[14:15], -v[18:19]
	v_mul_f64 v[6:7], v[6:7], v[16:17]
	v_fma_f64 v[20:21], v[8:9], v[14:15], v[6:7]
	v_add_co_u32 v14, vcc_lo, 0x10800, v131
	v_add_co_ci_u32_e32 v15, vcc_lo, 0, v162, vcc_lo
	ds_read_b128 v[6:9], v130 offset:20800
	global_load_dwordx4 v[14:17], v[14:15], off offset:1216
	ds_write_b128 v130, v[18:21] offset:16000
	s_waitcnt vmcnt(0) lgkmcnt(1)
	v_mul_f64 v[18:19], v[8:9], v[16:17]
	v_fma_f64 v[18:19], v[6:7], v[14:15], -v[18:19]
	v_mul_f64 v[6:7], v[6:7], v[16:17]
	v_fma_f64 v[20:21], v[8:9], v[14:15], v[6:7]
	global_load_dwordx4 v[14:17], v[10:11], off offset:1920
	ds_read_b128 v[6:9], v130 offset:25600
	ds_write_b128 v130, v[18:21] offset:20800
	s_waitcnt vmcnt(0) lgkmcnt(1)
	v_mul_f64 v[10:11], v[8:9], v[16:17]
	v_fma_f64 v[18:19], v[6:7], v[14:15], -v[10:11]
	v_mul_f64 v[6:7], v[6:7], v[16:17]
	v_add_co_u32 v10, vcc_lo, 0x13000, v131
	v_add_co_ci_u32_e32 v11, vcc_lo, 0, v162, vcc_lo
	v_fma_f64 v[20:21], v[8:9], v[14:15], v[6:7]
	global_load_dwordx4 v[14:17], v[10:11], off offset:576
	ds_read_b128 v[6:9], v130 offset:30400
	ds_write_b128 v130, v[18:21] offset:25600
	s_waitcnt vmcnt(0) lgkmcnt(1)
	v_mul_f64 v[10:11], v[8:9], v[16:17]
	v_fma_f64 v[18:19], v[6:7], v[14:15], -v[10:11]
	v_mul_f64 v[6:7], v[6:7], v[16:17]
	v_add_co_u32 v10, vcc_lo, 0x14000, v131
	v_add_co_ci_u32_e32 v11, vcc_lo, 0, v162, vcc_lo
	v_fma_f64 v[20:21], v[8:9], v[14:15], v[6:7]
	global_load_dwordx4 v[14:17], v[10:11], off offset:1280
	ds_read_b128 v[6:9], v130 offset:35200
	ds_write_b128 v130, v[18:21] offset:30400
	s_waitcnt vmcnt(0) lgkmcnt(1)
	v_mul_f64 v[10:11], v[8:9], v[16:17]
	v_fma_f64 v[18:19], v[6:7], v[14:15], -v[10:11]
	global_load_dwordx4 v[10:13], v[12:13], off offset:1984
	v_mul_f64 v[6:7], v[6:7], v[16:17]
	v_fma_f64 v[20:21], v[8:9], v[14:15], v[6:7]
	ds_read_b128 v[6:9], v130 offset:40000
	ds_write_b128 v130, v[18:21] offset:35200
	s_waitcnt vmcnt(0) lgkmcnt(1)
	v_mul_f64 v[14:15], v[8:9], v[12:13]
	v_fma_f64 v[14:15], v[6:7], v[10:11], -v[14:15]
	v_mul_f64 v[6:7], v[6:7], v[12:13]
	v_fma_f64 v[16:17], v[8:9], v[10:11], v[6:7]
	v_add_co_u32 v10, vcc_lo, 0x16800, v131
	v_add_co_ci_u32_e32 v11, vcc_lo, 0, v162, vcc_lo
	ds_read_b128 v[6:9], v130 offset:44800
	global_load_dwordx4 v[10:13], v[10:11], off offset:640
	ds_write_b128 v130, v[14:17] offset:40000
	s_waitcnt vmcnt(0) lgkmcnt(1)
	v_mul_f64 v[14:15], v[8:9], v[12:13]
	v_fma_f64 v[14:15], v[6:7], v[10:11], -v[14:15]
	v_mul_f64 v[6:7], v[6:7], v[12:13]
	v_fma_f64 v[16:17], v[8:9], v[10:11], v[6:7]
	global_load_dwordx4 v[10:13], v[0:1], off
	ds_read_b128 v[6:9], v130 offset:3200
	ds_write_b128 v130, v[14:17] offset:44800
	s_waitcnt vmcnt(0) lgkmcnt(1)
	v_mul_f64 v[0:1], v[8:9], v[12:13]
	v_fma_f64 v[14:15], v[6:7], v[10:11], -v[0:1]
	v_mul_f64 v[0:1], v[6:7], v[12:13]
	v_fma_f64 v[16:17], v[8:9], v[10:11], v[0:1]
	v_add_co_u32 v0, vcc_lo, 0xd800, v131
	v_add_co_ci_u32_e32 v1, vcc_lo, 0, v162, vcc_lo
	ds_read_b128 v[6:9], v130 offset:8000
	global_load_dwordx4 v[10:13], v[0:1], off offset:704
	ds_write_b128 v130, v[14:17] offset:3200
	s_waitcnt vmcnt(0) lgkmcnt(1)
	v_mul_f64 v[0:1], v[8:9], v[12:13]
	v_fma_f64 v[14:15], v[6:7], v[10:11], -v[0:1]
	v_mul_f64 v[0:1], v[6:7], v[12:13]
	v_fma_f64 v[16:17], v[8:9], v[10:11], v[0:1]
	v_add_co_u32 v0, vcc_lo, 0xe800, v131
	v_add_co_ci_u32_e32 v1, vcc_lo, 0, v162, vcc_lo
	ds_read_b128 v[6:9], v130 offset:12800
	global_load_dwordx4 v[10:13], v[0:1], off offset:1408
	ds_write_b128 v130, v[14:17] offset:8000
	s_waitcnt vmcnt(0) lgkmcnt(1)
	v_mul_f64 v[0:1], v[8:9], v[12:13]
	v_fma_f64 v[14:15], v[6:7], v[10:11], -v[0:1]
	v_mul_f64 v[0:1], v[6:7], v[12:13]
	v_fma_f64 v[16:17], v[8:9], v[10:11], v[0:1]
	global_load_dwordx4 v[0:3], v[2:3], off offset:64
	ds_read_b128 v[6:9], v130 offset:17600
	ds_write_b128 v130, v[14:17] offset:12800
	s_waitcnt vmcnt(0) lgkmcnt(1)
	v_mul_f64 v[10:11], v[8:9], v[2:3]
	v_mul_f64 v[2:3], v[6:7], v[2:3]
	v_fma_f64 v[10:11], v[6:7], v[0:1], -v[10:11]
	v_add_co_u32 v6, vcc_lo, 0x11000, v131
	v_add_co_ci_u32_e32 v7, vcc_lo, 0, v162, vcc_lo
	v_fma_f64 v[12:13], v[8:9], v[0:1], v[2:3]
	ds_read_b128 v[0:3], v130 offset:22400
	global_load_dwordx4 v[6:9], v[6:7], off offset:768
	ds_write_b128 v130, v[10:13] offset:17600
	s_waitcnt vmcnt(0) lgkmcnt(1)
	v_mul_f64 v[10:11], v[2:3], v[8:9]
	v_fma_f64 v[10:11], v[0:1], v[6:7], -v[10:11]
	v_mul_f64 v[0:1], v[0:1], v[8:9]
	v_fma_f64 v[12:13], v[2:3], v[6:7], v[0:1]
	v_add_co_u32 v6, vcc_lo, 0x12000, v131
	v_add_co_ci_u32_e32 v7, vcc_lo, 0, v162, vcc_lo
	ds_read_b128 v[0:3], v130 offset:27200
	global_load_dwordx4 v[6:9], v[6:7], off offset:1472
	ds_write_b128 v130, v[10:13] offset:22400
	s_waitcnt vmcnt(0) lgkmcnt(1)
	v_mul_f64 v[10:11], v[2:3], v[8:9]
	v_fma_f64 v[10:11], v[0:1], v[6:7], -v[10:11]
	v_mul_f64 v[0:1], v[0:1], v[8:9]
	v_fma_f64 v[12:13], v[2:3], v[6:7], v[0:1]
	global_load_dwordx4 v[4:7], v[4:5], off offset:128
	ds_read_b128 v[0:3], v130 offset:32000
	ds_write_b128 v130, v[10:13] offset:27200
	s_waitcnt vmcnt(0) lgkmcnt(1)
	v_mul_f64 v[8:9], v[2:3], v[6:7]
	v_fma_f64 v[8:9], v[0:1], v[4:5], -v[8:9]
	v_mul_f64 v[0:1], v[0:1], v[6:7]
	v_fma_f64 v[10:11], v[2:3], v[4:5], v[0:1]
	v_add_co_u32 v4, vcc_lo, 0x14800, v131
	v_add_co_ci_u32_e32 v5, vcc_lo, 0, v162, vcc_lo
	ds_read_b128 v[0:3], v130 offset:36800
	global_load_dwordx4 v[4:7], v[4:5], off offset:832
	ds_write_b128 v130, v[8:11] offset:32000
	s_waitcnt vmcnt(0) lgkmcnt(1)
	v_mul_f64 v[8:9], v[2:3], v[6:7]
	v_fma_f64 v[8:9], v[0:1], v[4:5], -v[8:9]
	v_mul_f64 v[0:1], v[0:1], v[6:7]
	v_fma_f64 v[10:11], v[2:3], v[4:5], v[0:1]
	v_add_co_u32 v4, vcc_lo, 0x15800, v131
	v_add_co_ci_u32_e32 v5, vcc_lo, 0, v162, vcc_lo
	ds_read_b128 v[0:3], v130 offset:41600
	global_load_dwordx4 v[4:7], v[4:5], off offset:1536
	;; [unrolled: 10-line block ×3, first 2 shown]
	ds_write_b128 v130, v[8:11] offset:41600
	s_waitcnt vmcnt(0) lgkmcnt(1)
	v_mul_f64 v[8:9], v[2:3], v[6:7]
	v_fma_f64 v[8:9], v[0:1], v[4:5], -v[8:9]
	v_mul_f64 v[0:1], v[0:1], v[6:7]
	v_fma_f64 v[10:11], v[2:3], v[4:5], v[0:1]
	ds_write_b128 v130, v[8:11] offset:46400
	s_waitcnt lgkmcnt(0)
	s_barrier
	buffer_gl0_inv
	ds_read_b128 v[76:79], v130
	ds_read_b128 v[16:19], v130 offset:4800
	ds_read_b128 v[68:71], v130 offset:9600
	;; [unrolled: 1-line block ×29, first 2 shown]
	s_waitcnt lgkmcnt(27)
	v_add_f64 v[120:121], v[76:77], v[68:69]
	s_waitcnt lgkmcnt(21)
	v_add_f64 v[122:123], v[70:71], -v[66:67]
	v_add_f64 v[131:132], v[74:75], -v[62:63]
	v_add_f64 v[128:129], v[68:69], -v[72:73]
	v_add_f64 v[133:134], v[64:65], -v[60:61]
	v_add_f64 v[135:136], v[60:61], -v[64:65]
	s_waitcnt lgkmcnt(0)
	s_barrier
	buffer_gl0_inv
	v_add_f64 v[120:121], v[120:121], v[72:73]
	v_add_f64 v[128:129], v[128:129], v[133:134]
	v_add_f64 v[133:134], v[72:73], -v[68:69]
	v_add_f64 v[120:121], v[120:121], v[60:61]
	v_add_f64 v[133:134], v[133:134], v[135:136]
	;; [unrolled: 1-line block ×4, first 2 shown]
	v_add_f64 v[60:61], v[72:73], -v[60:61]
	v_add_f64 v[72:73], v[70:71], -v[74:75]
	v_fma_f64 v[120:121], v[120:121], -0.5, v[76:77]
	v_fma_f64 v[126:127], v[122:123], s[8:9], v[120:121]
	v_fma_f64 v[120:121], v[122:123], s[4:5], v[120:121]
	;; [unrolled: 1-line block ×6, first 2 shown]
	v_add_f64 v[120:121], v[68:69], v[64:65]
	v_add_f64 v[64:65], v[68:69], -v[64:65]
	v_fma_f64 v[76:77], v[120:121], -0.5, v[76:77]
	v_fma_f64 v[120:121], v[131:132], s[4:5], v[76:77]
	v_fma_f64 v[76:77], v[131:132], s[8:9], v[76:77]
	v_fma_f64 v[120:121], v[122:123], s[14:15], v[120:121]
	v_fma_f64 v[76:77], v[122:123], s[2:3], v[76:77]
	v_fma_f64 v[140:141], v[133:134], s[6:7], v[120:121]
	v_fma_f64 v[132:133], v[133:134], s[6:7], v[76:77]
	v_add_f64 v[76:77], v[78:79], v[70:71]
	v_add_f64 v[120:121], v[66:67], -v[62:63]
	v_add_f64 v[76:77], v[76:77], v[74:75]
	v_add_f64 v[72:73], v[72:73], v[120:121]
	;; [unrolled: 1-line block ×5, first 2 shown]
	v_add_f64 v[62:63], v[62:63], -v[66:67]
	v_fma_f64 v[76:77], v[76:77], -0.5, v[78:79]
	v_fma_f64 v[68:69], v[64:65], s[4:5], v[76:77]
	v_fma_f64 v[68:69], v[60:61], s[2:3], v[68:69]
	;; [unrolled: 1-line block ×6, first 2 shown]
	v_add_f64 v[68:69], v[70:71], v[66:67]
	v_add_f64 v[70:71], v[74:75], -v[70:71]
	v_add_f64 v[66:67], v[14:15], -v[2:3]
	v_fma_f64 v[68:69], v[68:69], -0.5, v[78:79]
	v_add_f64 v[62:63], v[70:71], v[62:63]
	v_add_f64 v[70:71], v[4:5], -v[0:1]
	v_fma_f64 v[72:73], v[60:61], s[8:9], v[68:69]
	v_fma_f64 v[60:61], v[60:61], s[4:5], v[68:69]
	v_add_f64 v[68:69], v[8:9], -v[12:13]
	v_fma_f64 v[72:73], v[64:65], s[2:3], v[72:73]
	v_fma_f64 v[60:61], v[64:65], s[14:15], v[60:61]
	v_add_f64 v[68:69], v[68:69], v[70:71]
	v_fma_f64 v[136:137], v[62:63], s[6:7], v[72:73]
	v_fma_f64 v[122:123], v[62:63], s[6:7], v[60:61]
	v_add_f64 v[60:61], v[16:17], v[8:9]
	v_add_f64 v[62:63], v[10:11], -v[6:7]
	v_add_f64 v[60:61], v[60:61], v[12:13]
	v_add_f64 v[60:61], v[60:61], v[0:1]
	;; [unrolled: 1-line block ×4, first 2 shown]
	v_fma_f64 v[60:61], v[60:61], -0.5, v[16:17]
	v_fma_f64 v[64:65], v[62:63], s[8:9], v[60:61]
	v_fma_f64 v[60:61], v[62:63], s[4:5], v[60:61]
	v_fma_f64 v[64:65], v[66:67], s[14:15], v[64:65]
	v_fma_f64 v[60:61], v[66:67], s[2:3], v[60:61]
	v_fma_f64 v[70:71], v[68:69], s[6:7], v[64:65]
	v_fma_f64 v[78:79], v[68:69], s[6:7], v[60:61]
	v_add_f64 v[60:61], v[8:9], v[4:5]
	v_add_f64 v[64:65], v[12:13], -v[8:9]
	v_add_f64 v[68:69], v[0:1], -v[4:5]
	;; [unrolled: 1-line block ×5, first 2 shown]
	v_fma_f64 v[16:17], v[60:61], -0.5, v[16:17]
	v_add_f64 v[64:65], v[64:65], v[68:69]
	v_fma_f64 v[60:61], v[66:67], s[4:5], v[16:17]
	v_fma_f64 v[16:17], v[66:67], s[8:9], v[16:17]
	;; [unrolled: 1-line block ×4, first 2 shown]
	v_add_f64 v[62:63], v[6:7], -v[2:3]
	v_fma_f64 v[74:75], v[64:65], s[6:7], v[60:61]
	v_add_f64 v[60:61], v[18:19], v[10:11]
	v_add_f64 v[12:13], v[12:13], v[62:63]
	v_fma_f64 v[16:17], v[64:65], s[6:7], v[16:17]
	v_add_f64 v[60:61], v[60:61], v[14:15]
	v_add_f64 v[60:61], v[60:61], v[2:3]
	;; [unrolled: 1-line block ×4, first 2 shown]
	v_add_f64 v[2:3], v[2:3], -v[6:7]
	v_add_f64 v[62:63], v[138:139], v[144:145]
	v_fma_f64 v[60:61], v[60:61], -0.5, v[18:19]
	v_fma_f64 v[8:9], v[4:5], s[4:5], v[60:61]
	v_fma_f64 v[60:61], v[4:5], s[8:9], v[60:61]
	;; [unrolled: 1-line block ×6, first 2 shown]
	v_add_f64 v[60:61], v[10:11], v[6:7]
	v_add_f64 v[10:11], v[14:15], -v[10:11]
	v_fma_f64 v[18:19], v[60:61], -0.5, v[18:19]
	v_add_f64 v[2:3], v[10:11], v[2:3]
	v_fma_f64 v[60:61], v[0:1], s[8:9], v[18:19]
	v_fma_f64 v[0:1], v[0:1], s[4:5], v[18:19]
	;; [unrolled: 1-line block ×6, first 2 shown]
	v_mul_f64 v[2:3], v[8:9], s[14:15]
	v_add_f64 v[60:61], v[124:125], v[142:143]
	v_mul_f64 v[4:5], v[6:7], s[8:9]
	v_fma_f64 v[2:3], v[70:71], s[20:21], v[2:3]
	v_fma_f64 v[10:11], v[74:75], s[6:7], v[4:5]
	v_mul_f64 v[4:5], v[0:1], s[8:9]
	v_mul_f64 v[0:1], v[0:1], s[16:17]
	v_add_f64 v[64:65], v[126:127], v[2:3]
	v_add_f64 v[68:69], v[140:141], v[10:11]
	v_fma_f64 v[14:15], v[16:17], s[16:17], v[4:5]
	v_mul_f64 v[4:5], v[12:13], s[14:15]
	v_fma_f64 v[157:158], v[16:17], s[4:5], v[0:1]
	v_mul_f64 v[0:1], v[12:13], s[18:19]
	v_add_f64 v[72:73], v[132:133], v[14:15]
	v_fma_f64 v[18:19], v[78:79], s[18:19], v[4:5]
	v_mul_f64 v[4:5], v[70:71], s[2:3]
	v_add_f64 v[12:13], v[132:133], -v[14:15]
	v_add_f64 v[14:15], v[122:123], -v[157:158]
	v_fma_f64 v[159:160], v[78:79], s[2:3], v[0:1]
	v_add_f64 v[0:1], v[124:125], -v[142:143]
	v_add_f64 v[124:125], v[42:43], -v[58:59]
	;; [unrolled: 1-line block ×3, first 2 shown]
	v_add_f64 v[76:77], v[128:129], v[18:19]
	v_fma_f64 v[146:147], v[8:9], s[20:21], v[4:5]
	v_mul_f64 v[4:5], v[6:7], s[6:7]
	v_add_f64 v[16:17], v[128:129], -v[18:19]
	v_add_f64 v[128:129], v[50:51], -v[54:55]
	v_add_f64 v[78:79], v[120:121], v[159:160]
	v_add_f64 v[18:19], v[120:121], -v[159:160]
	v_add_f64 v[120:121], v[44:45], v[40:41]
	;; [unrolled: 2-line block ×3, first 2 shown]
	v_fma_f64 v[148:149], v[74:75], s[4:5], v[4:5]
	v_add_f64 v[74:75], v[122:123], v[157:158]
	v_add_f64 v[122:123], v[48:49], v[52:53]
	v_add_f64 v[4:5], v[126:127], -v[2:3]
	v_add_f64 v[6:7], v[134:135], -v[146:147]
	;; [unrolled: 1-line block ×3, first 2 shown]
	v_add_f64 v[120:121], v[120:121], v[48:49]
	v_add_f64 v[2:3], v[138:139], -v[144:145]
	v_add_f64 v[70:71], v[136:137], v[148:149]
	v_add_f64 v[10:11], v[136:137], -v[148:149]
	v_fma_f64 v[122:123], v[122:123], -0.5, v[44:45]
	v_add_f64 v[135:136], v[52:53], -v[56:57]
	v_add_f64 v[131:132], v[131:132], v[133:134]
	v_add_f64 v[133:134], v[48:49], -v[40:41]
	v_add_f64 v[120:121], v[120:121], v[52:53]
	v_add_f64 v[48:49], v[48:49], -v[52:53]
	v_fma_f64 v[126:127], v[124:125], s[8:9], v[122:123]
	v_fma_f64 v[122:123], v[124:125], s[4:5], v[122:123]
	v_add_f64 v[133:134], v[133:134], v[135:136]
	v_add_f64 v[120:121], v[120:121], v[56:57]
	v_fma_f64 v[126:127], v[128:129], s[14:15], v[126:127]
	v_fma_f64 v[122:123], v[128:129], s[2:3], v[122:123]
	;; [unrolled: 1-line block ×4, first 2 shown]
	v_add_f64 v[131:132], v[40:41], v[56:57]
	v_add_f64 v[40:41], v[40:41], -v[56:57]
	v_fma_f64 v[44:45], v[131:132], -0.5, v[44:45]
	v_fma_f64 v[131:132], v[128:129], s[4:5], v[44:45]
	v_fma_f64 v[44:45], v[128:129], s[8:9], v[44:45]
	;; [unrolled: 1-line block ×6, first 2 shown]
	v_add_f64 v[44:45], v[46:47], v[42:43]
	v_add_f64 v[133:134], v[58:59], -v[54:55]
	v_add_f64 v[44:45], v[44:45], v[50:51]
	v_add_f64 v[44:45], v[44:45], v[54:55]
	;; [unrolled: 1-line block ×4, first 2 shown]
	v_fma_f64 v[44:45], v[44:45], -0.5, v[46:47]
	v_fma_f64 v[56:57], v[40:41], s[4:5], v[44:45]
	v_fma_f64 v[44:45], v[40:41], s[8:9], v[44:45]
	;; [unrolled: 1-line block ×3, first 2 shown]
	v_add_f64 v[56:57], v[42:43], -v[50:51]
	v_fma_f64 v[44:45], v[48:49], s[14:15], v[44:45]
	v_add_f64 v[56:57], v[56:57], v[133:134]
	v_fma_f64 v[135:136], v[56:57], s[6:7], v[44:45]
	v_add_f64 v[44:45], v[42:43], v[58:59]
	v_add_f64 v[42:43], v[50:51], -v[42:43]
	v_add_f64 v[50:51], v[54:55], -v[58:59]
	v_fma_f64 v[133:134], v[56:57], s[6:7], v[52:53]
	v_add_f64 v[52:53], v[20:21], -v[28:29]
	v_add_f64 v[56:57], v[36:37], -v[32:33]
	;; [unrolled: 1-line block ×3, first 2 shown]
	v_fma_f64 v[44:45], v[44:45], -0.5, v[46:47]
	v_add_f64 v[42:43], v[42:43], v[50:51]
	v_add_f64 v[50:51], v[30:31], -v[34:35]
	v_add_f64 v[52:53], v[52:53], v[56:57]
	v_fma_f64 v[46:47], v[48:49], s[8:9], v[44:45]
	v_fma_f64 v[44:45], v[48:49], s[4:5], v[44:45]
	;; [unrolled: 1-line block ×6, first 2 shown]
	v_add_f64 v[40:41], v[24:25], v[20:21]
	v_add_f64 v[42:43], v[22:23], -v[38:39]
	v_add_f64 v[40:41], v[40:41], v[28:29]
	v_add_f64 v[40:41], v[40:41], v[32:33]
	;; [unrolled: 1-line block ×4, first 2 shown]
	v_fma_f64 v[40:41], v[40:41], -0.5, v[24:25]
	v_fma_f64 v[48:49], v[42:43], s[8:9], v[40:41]
	v_fma_f64 v[40:41], v[42:43], s[4:5], v[40:41]
	;; [unrolled: 1-line block ×6, first 2 shown]
	v_add_f64 v[40:41], v[20:21], v[36:37]
	v_add_f64 v[48:49], v[28:29], -v[20:21]
	v_add_f64 v[20:21], v[20:21], -v[36:37]
	;; [unrolled: 1-line block ×3, first 2 shown]
	v_fma_f64 v[24:25], v[40:41], -0.5, v[24:25]
	v_add_f64 v[48:49], v[48:49], v[58:59]
	v_fma_f64 v[40:41], v[50:51], s[4:5], v[24:25]
	v_fma_f64 v[24:25], v[50:51], s[8:9], v[24:25]
	;; [unrolled: 1-line block ×6, first 2 shown]
	v_add_f64 v[24:25], v[26:27], v[22:23]
	v_add_f64 v[40:41], v[38:39], -v[34:35]
	v_add_f64 v[24:25], v[24:25], v[30:31]
	v_add_f64 v[24:25], v[24:25], v[34:35]
	;; [unrolled: 1-line block ×4, first 2 shown]
	v_fma_f64 v[24:25], v[24:25], -0.5, v[26:27]
	v_fma_f64 v[36:37], v[20:21], s[4:5], v[24:25]
	v_fma_f64 v[24:25], v[20:21], s[8:9], v[24:25]
	;; [unrolled: 1-line block ×3, first 2 shown]
	v_add_f64 v[36:37], v[22:23], -v[30:31]
	v_fma_f64 v[24:25], v[28:29], s[14:15], v[24:25]
	v_add_f64 v[36:37], v[36:37], v[40:41]
	v_fma_f64 v[50:51], v[36:37], s[6:7], v[24:25]
	v_add_f64 v[24:25], v[22:23], v[38:39]
	v_add_f64 v[22:23], v[30:31], -v[22:23]
	v_add_f64 v[30:31], v[34:35], -v[38:39]
	v_fma_f64 v[32:33], v[36:37], s[6:7], v[32:33]
	v_fma_f64 v[24:25], v[24:25], -0.5, v[26:27]
	v_add_f64 v[22:23], v[22:23], v[30:31]
	v_mul_f64 v[30:31], v[56:57], s[2:3]
	v_fma_f64 v[26:27], v[28:29], s[8:9], v[24:25]
	v_fma_f64 v[24:25], v[28:29], s[4:5], v[24:25]
	;; [unrolled: 1-line block ×5, first 2 shown]
	v_add_f64 v[24:25], v[120:121], v[44:45]
	v_add_f64 v[30:31], v[133:134], v[145:146]
	v_fma_f64 v[34:35], v[22:23], s[6:7], v[26:27]
	v_fma_f64 v[20:21], v[22:23], s[6:7], v[20:21]
	v_mul_f64 v[22:23], v[32:33], s[14:15]
	v_mul_f64 v[26:27], v[34:35], s[8:9]
	;; [unrolled: 1-line block ×3, first 2 shown]
	v_fma_f64 v[22:23], v[56:57], s[20:21], v[22:23]
	v_add_f64 v[34:35], v[133:134], -v[145:146]
	v_add_f64 v[133:134], v[116:117], -v[112:113]
	v_fma_f64 v[139:140], v[58:59], s[6:7], v[26:27]
	v_mul_f64 v[26:27], v[20:21], s[8:9]
	v_mul_f64 v[20:21], v[20:21], s[16:17]
	v_add_f64 v[28:29], v[126:127], v[22:23]
	v_fma_f64 v[58:59], v[58:59], s[4:5], v[32:33]
	v_add_f64 v[32:33], v[126:127], -v[22:23]
	v_add_f64 v[22:23], v[128:129], -v[137:138]
	v_add_f64 v[36:37], v[131:132], v[139:140]
	v_fma_f64 v[141:142], v[42:43], s[16:17], v[26:27]
	v_mul_f64 v[26:27], v[50:51], s[14:15]
	v_fma_f64 v[147:148], v[42:43], s[4:5], v[20:21]
	v_mul_f64 v[20:21], v[50:51], s[18:19]
	v_add_f64 v[38:39], v[46:47], v[58:59]
	v_add_f64 v[46:47], v[46:47], -v[58:59]
	v_add_f64 v[40:41], v[124:125], v[141:142]
	v_fma_f64 v[143:144], v[52:53], s[18:19], v[26:27]
	v_add_f64 v[26:27], v[128:129], v[137:138]
	v_fma_f64 v[157:158], v[52:53], s[2:3], v[20:21]
	v_add_f64 v[52:53], v[124:125], -v[141:142]
	v_add_f64 v[124:125], v[106:107], -v[118:119]
	;; [unrolled: 1-line block ×6, first 2 shown]
	v_add_f64 v[120:121], v[100:101], v[104:105]
	v_add_f64 v[42:43], v[54:55], v[147:148]
	v_add_f64 v[54:55], v[54:55], -v[147:148]
	v_add_f64 v[48:49], v[122:123], v[143:144]
	v_add_f64 v[56:57], v[122:123], -v[143:144]
	v_add_f64 v[122:123], v[108:109], v[112:113]
	v_add_f64 v[50:51], v[135:136], v[157:158]
	v_add_f64 v[58:59], v[135:136], -v[157:158]
	v_add_f64 v[135:136], v[112:113], -v[116:117]
	v_add_f64 v[131:132], v[131:132], v[133:134]
	v_add_f64 v[133:134], v[108:109], -v[104:105]
	v_add_f64 v[120:121], v[120:121], v[108:109]
	v_add_f64 v[108:109], v[108:109], -v[112:113]
	v_fma_f64 v[122:123], v[122:123], -0.5, v[100:101]
	v_add_f64 v[133:134], v[133:134], v[135:136]
	v_add_f64 v[120:121], v[120:121], v[112:113]
	v_fma_f64 v[126:127], v[124:125], s[8:9], v[122:123]
	v_fma_f64 v[122:123], v[124:125], s[4:5], v[122:123]
	v_add_f64 v[120:121], v[120:121], v[116:117]
	v_fma_f64 v[126:127], v[128:129], s[14:15], v[126:127]
	v_fma_f64 v[122:123], v[128:129], s[2:3], v[122:123]
	;; [unrolled: 1-line block ×4, first 2 shown]
	v_add_f64 v[131:132], v[104:105], v[116:117]
	v_add_f64 v[104:105], v[104:105], -v[116:117]
	v_fma_f64 v[100:101], v[131:132], -0.5, v[100:101]
	v_fma_f64 v[131:132], v[128:129], s[4:5], v[100:101]
	v_fma_f64 v[100:101], v[128:129], s[8:9], v[100:101]
	v_fma_f64 v[131:132], v[124:125], s[14:15], v[131:132]
	v_fma_f64 v[100:101], v[124:125], s[2:3], v[100:101]
	v_fma_f64 v[131:132], v[133:134], s[6:7], v[131:132]
	v_fma_f64 v[124:125], v[133:134], s[6:7], v[100:101]
	v_add_f64 v[100:101], v[102:103], v[106:107]
	v_add_f64 v[133:134], v[118:119], -v[114:115]
	v_add_f64 v[100:101], v[100:101], v[110:111]
	v_add_f64 v[100:101], v[100:101], v[114:115]
	;; [unrolled: 1-line block ×4, first 2 shown]
	v_fma_f64 v[100:101], v[100:101], -0.5, v[102:103]
	v_fma_f64 v[116:117], v[104:105], s[4:5], v[100:101]
	v_fma_f64 v[100:101], v[104:105], s[8:9], v[100:101]
	;; [unrolled: 1-line block ×3, first 2 shown]
	v_add_f64 v[116:117], v[106:107], -v[110:111]
	v_fma_f64 v[100:101], v[108:109], s[14:15], v[100:101]
	v_add_f64 v[116:117], v[116:117], v[133:134]
	v_fma_f64 v[135:136], v[116:117], s[6:7], v[100:101]
	v_add_f64 v[100:101], v[106:107], v[118:119]
	v_add_f64 v[106:107], v[110:111], -v[106:107]
	v_add_f64 v[110:111], v[114:115], -v[118:119]
	v_fma_f64 v[133:134], v[116:117], s[6:7], v[112:113]
	v_add_f64 v[112:113], v[96:97], -v[92:93]
	v_add_f64 v[116:117], v[92:93], -v[96:97]
	v_fma_f64 v[100:101], v[100:101], -0.5, v[102:103]
	v_add_f64 v[106:107], v[106:107], v[110:111]
	v_add_f64 v[110:111], v[80:81], -v[88:89]
	v_fma_f64 v[102:103], v[108:109], s[8:9], v[100:101]
	v_fma_f64 v[100:101], v[108:109], s[4:5], v[100:101]
	v_add_f64 v[108:109], v[90:91], -v[94:95]
	v_add_f64 v[110:111], v[110:111], v[112:113]
	v_add_f64 v[112:113], v[88:89], -v[80:81]
	v_fma_f64 v[102:103], v[104:105], s[2:3], v[102:103]
	v_fma_f64 v[100:101], v[104:105], s[14:15], v[100:101]
	v_add_f64 v[112:113], v[112:113], v[116:117]
	v_fma_f64 v[114:115], v[106:107], s[6:7], v[102:103]
	v_fma_f64 v[118:119], v[106:107], s[6:7], v[100:101]
	v_add_f64 v[100:101], v[84:85], v[80:81]
	v_add_f64 v[102:103], v[82:83], -v[98:99]
	v_add_f64 v[100:101], v[100:101], v[88:89]
	v_add_f64 v[100:101], v[100:101], v[92:93]
	;; [unrolled: 1-line block ×4, first 2 shown]
	v_add_f64 v[88:89], v[88:89], -v[92:93]
	v_fma_f64 v[100:101], v[100:101], -0.5, v[84:85]
	v_fma_f64 v[106:107], v[102:103], s[8:9], v[100:101]
	v_fma_f64 v[100:101], v[102:103], s[4:5], v[100:101]
	;; [unrolled: 1-line block ×6, first 2 shown]
	v_add_f64 v[100:101], v[80:81], v[96:97]
	v_add_f64 v[80:81], v[80:81], -v[96:97]
	v_fma_f64 v[84:85], v[100:101], -0.5, v[84:85]
	v_fma_f64 v[100:101], v[108:109], s[4:5], v[84:85]
	v_fma_f64 v[84:85], v[108:109], s[8:9], v[84:85]
	;; [unrolled: 1-line block ×6, first 2 shown]
	v_add_f64 v[84:85], v[86:87], v[82:83]
	v_add_f64 v[100:101], v[98:99], -v[94:95]
	v_add_f64 v[84:85], v[84:85], v[90:91]
	v_add_f64 v[84:85], v[84:85], v[94:95]
	;; [unrolled: 1-line block ×4, first 2 shown]
	v_fma_f64 v[84:85], v[84:85], -0.5, v[86:87]
	v_fma_f64 v[96:97], v[80:81], s[4:5], v[84:85]
	v_fma_f64 v[84:85], v[80:81], s[8:9], v[84:85]
	;; [unrolled: 1-line block ×3, first 2 shown]
	v_add_f64 v[96:97], v[82:83], -v[90:91]
	v_fma_f64 v[84:85], v[88:89], s[14:15], v[84:85]
	v_add_f64 v[96:97], v[96:97], v[100:101]
	v_fma_f64 v[112:113], v[96:97], s[6:7], v[84:85]
	v_add_f64 v[84:85], v[82:83], v[98:99]
	v_add_f64 v[82:83], v[90:91], -v[82:83]
	v_add_f64 v[90:91], v[94:95], -v[98:99]
	v_fma_f64 v[92:93], v[96:97], s[6:7], v[92:93]
	v_fma_f64 v[84:85], v[84:85], -0.5, v[86:87]
	v_add_f64 v[82:83], v[82:83], v[90:91]
	v_mul_f64 v[90:91], v[106:107], s[2:3]
	v_fma_f64 v[86:87], v[88:89], s[8:9], v[84:85]
	v_fma_f64 v[84:85], v[88:89], s[4:5], v[84:85]
	;; [unrolled: 1-line block ×4, first 2 shown]
	v_add_f64 v[84:85], v[120:121], v[104:105]
	v_fma_f64 v[94:95], v[82:83], s[6:7], v[86:87]
	v_fma_f64 v[80:81], v[82:83], s[6:7], v[80:81]
	v_mul_f64 v[82:83], v[92:93], s[14:15]
	v_mul_f64 v[86:87], v[94:95], s[8:9]
	v_fma_f64 v[82:83], v[106:107], s[20:21], v[82:83]
	v_fma_f64 v[106:107], v[92:93], s[20:21], v[90:91]
	v_mul_f64 v[92:93], v[94:95], s[6:7]
	v_fma_f64 v[139:140], v[116:117], s[6:7], v[86:87]
	v_mul_f64 v[86:87], v[80:81], s[8:9]
	v_mul_f64 v[80:81], v[80:81], s[16:17]
	v_add_f64 v[88:89], v[126:127], v[82:83]
	v_fma_f64 v[145:146], v[116:117], s[4:5], v[92:93]
	v_add_f64 v[90:91], v[133:134], v[106:107]
	v_add_f64 v[92:93], v[126:127], -v[82:83]
	v_add_f64 v[82:83], v[128:129], -v[137:138]
	;; [unrolled: 1-line block ×3, first 2 shown]
	v_add_f64 v[96:97], v[131:132], v[139:140]
	v_fma_f64 v[141:142], v[102:103], s[16:17], v[86:87]
	v_mul_f64 v[86:87], v[112:113], s[14:15]
	v_fma_f64 v[147:148], v[102:103], s[4:5], v[80:81]
	v_mul_f64 v[80:81], v[112:113], s[18:19]
	v_add_f64 v[98:99], v[114:115], v[145:146]
	v_add_f64 v[106:107], v[114:115], -v[145:146]
	v_add_f64 v[100:101], v[124:125], v[141:142]
	v_fma_f64 v[143:144], v[110:111], s[18:19], v[86:87]
	v_add_f64 v[86:87], v[128:129], v[137:138]
	v_fma_f64 v[157:158], v[110:111], s[2:3], v[80:81]
	v_add_f64 v[102:103], v[118:119], v[147:148]
	v_add_f64 v[80:81], v[120:121], -v[104:105]
	v_add_f64 v[104:105], v[131:132], -v[139:140]
	;; [unrolled: 1-line block ×4, first 2 shown]
	v_add_f64 v[108:109], v[122:123], v[143:144]
	v_add_f64 v[116:117], v[122:123], -v[143:144]
	v_add_f64 v[110:111], v[135:136], v[157:158]
	v_add_f64 v[118:119], v[135:136], -v[157:158]
	ds_write_b128 v163, v[60:63]
	ds_write_b128 v163, v[64:67] offset:16
	ds_write_b128 v163, v[68:71] offset:32
	ds_write_b128 v163, v[72:75] offset:48
	ds_write_b128 v163, v[76:79] offset:64
	ds_write_b128 v163, v[0:3] offset:80
	ds_write_b128 v163, v[4:7] offset:96
	ds_write_b128 v163, v[8:11] offset:112
	ds_write_b128 v163, v[12:15] offset:128
	ds_write_b128 v163, v[16:19] offset:144
	ds_write_b128 v164, v[24:27]
	ds_write_b128 v164, v[28:31] offset:16
	ds_write_b128 v164, v[36:39] offset:32
	ds_write_b128 v164, v[40:43] offset:48
	ds_write_b128 v164, v[48:51] offset:64
	ds_write_b128 v164, v[20:23] offset:80
	ds_write_b128 v164, v[32:35] offset:96
	ds_write_b128 v164, v[44:47] offset:112
	ds_write_b128 v164, v[52:55] offset:128
	ds_write_b128 v164, v[56:59] offset:144
	;; [unrolled: 10-line block ×3, first 2 shown]
	s_waitcnt lgkmcnt(0)
	s_barrier
	buffer_gl0_inv
	ds_read_b128 v[36:39], v130
	ds_read_b128 v[40:43], v130 offset:16000
	ds_read_b128 v[44:47], v130 offset:32000
	;; [unrolled: 1-line block ×29, first 2 shown]
	s_clause 0x3
	buffer_load_dword v0, off, s[28:31], 0 offset:508
	buffer_load_dword v1, off, s[28:31], 0 offset:512
	buffer_load_dword v2, off, s[28:31], 0 offset:516
	buffer_load_dword v3, off, s[28:31], 0 offset:520
	s_waitcnt vmcnt(0) lgkmcnt(28)
	v_mul_f64 v[120:121], v[2:3], v[42:43]
	v_fma_f64 v[120:121], v[0:1], v[40:41], v[120:121]
	v_mul_f64 v[40:41], v[2:3], v[40:41]
	v_fma_f64 v[40:41], v[0:1], v[42:43], -v[40:41]
	s_clause 0x3
	buffer_load_dword v0, off, s[28:31], 0 offset:492
	buffer_load_dword v1, off, s[28:31], 0 offset:496
	buffer_load_dword v2, off, s[28:31], 0 offset:500
	buffer_load_dword v3, off, s[28:31], 0 offset:504
	s_waitcnt vmcnt(0) lgkmcnt(27)
	v_mul_f64 v[42:43], v[2:3], v[46:47]
	v_fma_f64 v[42:43], v[0:1], v[44:45], v[42:43]
	v_mul_f64 v[44:45], v[2:3], v[44:45]
	v_fma_f64 v[44:45], v[0:1], v[46:47], -v[44:45]
	;; [unrolled: 10-line block ×16, first 2 shown]
	s_clause 0x7
	buffer_load_dword v0, off, s[28:31], 0 offset:984
	buffer_load_dword v1, off, s[28:31], 0 offset:988
	;; [unrolled: 1-line block ×8, first 2 shown]
	s_waitcnt vmcnt(4) lgkmcnt(4)
	v_mul_f64 v[70:71], v[2:3], v[106:107]
	s_waitcnt vmcnt(0) lgkmcnt(3)
	v_mul_f64 v[10:11], v[74:75], v[110:111]
	v_fma_f64 v[163:164], v[0:1], v[104:105], v[70:71]
	v_mul_f64 v[70:71], v[2:3], v[104:105]
	v_fma_f64 v[10:11], v[72:73], v[108:109], v[10:11]
	v_fma_f64 v[0:1], v[0:1], v[106:107], -v[70:71]
	v_mul_f64 v[70:71], v[74:75], v[108:109]
	v_fma_f64 v[153:154], v[72:73], v[110:111], -v[70:71]
	s_clause 0x3
	buffer_load_dword v72, off, s[28:31], 0 offset:1020
	buffer_load_dword v73, off, s[28:31], 0 offset:1024
	;; [unrolled: 1-line block ×4, first 2 shown]
	s_waitcnt vmcnt(0) lgkmcnt(1)
	v_mul_f64 v[70:71], v[74:75], v[114:115]
	v_fma_f64 v[170:171], v[72:73], v[112:113], v[70:71]
	v_mul_f64 v[70:71], v[74:75], v[112:113]
	v_fma_f64 v[174:175], v[72:73], v[114:115], -v[70:71]
	s_clause 0x3
	buffer_load_dword v72, off, s[28:31], 0 offset:1036
	buffer_load_dword v73, off, s[28:31], 0 offset:1040
	;; [unrolled: 1-line block ×4, first 2 shown]
	s_waitcnt vmcnt(0) lgkmcnt(0)
	s_barrier
	buffer_gl0_inv
	v_mul_f64 v[70:71], v[74:75], v[118:119]
	v_mul_f64 v[8:9], v[74:75], v[116:117]
	v_fma_f64 v[2:3], v[72:73], v[116:117], v[70:71]
	v_add_f64 v[70:71], v[36:37], v[120:121]
	v_fma_f64 v[8:9], v[72:73], v[118:119], -v[8:9]
	v_add_f64 v[96:97], v[70:71], v[42:43]
	v_add_f64 v[70:71], v[120:121], v[42:43]
	v_fma_f64 v[36:37], v[70:71], -0.5, v[36:37]
	v_add_f64 v[70:71], v[40:41], -v[44:45]
	v_fma_f64 v[108:109], v[70:71], s[24:25], v[36:37]
	v_fma_f64 v[100:101], v[70:71], s[22:23], v[36:37]
	v_add_f64 v[36:37], v[38:39], v[40:41]
	v_add_f64 v[98:99], v[36:37], v[44:45]
	v_add_f64 v[36:37], v[40:41], v[44:45]
	v_fma_f64 v[36:37], v[36:37], -0.5, v[38:39]
	v_add_f64 v[38:39], v[120:121], -v[42:43]
	v_fma_f64 v[110:111], v[38:39], s[22:23], v[36:37]
	v_fma_f64 v[102:103], v[38:39], s[24:25], v[36:37]
	v_add_f64 v[36:37], v[32:33], v[46:47]
	;; [unrolled: 7-line block ×4, first 2 shown]
	ds_write_b128 v173, v[96:99]
	ds_write_b128 v173, v[108:111] offset:160
	ds_write_b128 v173, v[100:103] offset:320
	ds_write_b128 v172, v[116:119]
	ds_write_b128 v172, v[112:115] offset:160
	ds_write_b128 v172, v[104:107] offset:320
	v_add_f64 v[92:93], v[32:33], v[58:59]
	v_add_f64 v[32:33], v[54:55], v[58:59]
	v_fma_f64 v[28:29], v[32:33], -0.5, v[28:29]
	v_add_f64 v[32:33], v[56:57], -v[60:61]
	v_fma_f64 v[88:89], v[32:33], s[24:25], v[28:29]
	v_fma_f64 v[84:85], v[32:33], s[22:23], v[28:29]
	v_add_f64 v[28:29], v[30:31], v[56:57]
	v_add_f64 v[94:95], v[28:29], v[60:61]
	v_add_f64 v[28:29], v[56:57], v[60:61]
	v_fma_f64 v[28:29], v[28:29], -0.5, v[30:31]
	v_add_f64 v[30:31], v[54:55], -v[58:59]
	v_fma_f64 v[90:91], v[30:31], s[22:23], v[28:29]
	v_fma_f64 v[86:87], v[30:31], s[24:25], v[28:29]
	v_add_f64 v[28:29], v[24:25], v[62:63]
	;; [unrolled: 7-line block ×10, first 2 shown]
	v_add_f64 v[14:15], v[157:158], -v[161:162]
	v_add_f64 v[32:33], v[12:13], v[159:160]
	v_add_f64 v[12:13], v[147:148], v[159:160]
	v_fma_f64 v[12:13], v[12:13], -0.5, v[149:150]
	v_fma_f64 v[28:29], v[14:15], s[24:25], v[12:13]
	v_fma_f64 v[24:25], v[14:15], s[22:23], v[12:13]
	v_add_f64 v[12:13], v[151:152], v[157:158]
	v_add_f64 v[14:15], v[147:148], -v[159:160]
	v_add_f64 v[34:35], v[12:13], v[161:162]
	v_add_f64 v[12:13], v[157:158], v[161:162]
	v_fma_f64 v[12:13], v[12:13], -0.5, v[151:152]
	v_fma_f64 v[30:31], v[14:15], s[22:23], v[12:13]
	v_fma_f64 v[26:27], v[14:15], s[24:25], v[12:13]
	v_add_f64 v[12:13], v[165:166], v[163:164]
	v_add_f64 v[14:15], v[0:1], -v[153:154]
	v_add_f64 v[20:21], v[12:13], v[10:11]
	v_add_f64 v[12:13], v[163:164], v[10:11]
	v_add_f64 v[10:11], v[163:164], -v[10:11]
	v_fma_f64 v[12:13], v[12:13], -0.5, v[165:166]
	v_fma_f64 v[16:17], v[14:15], s[24:25], v[12:13]
	v_fma_f64 v[12:13], v[14:15], s[22:23], v[12:13]
	v_add_f64 v[14:15], v[167:168], v[0:1]
	v_add_f64 v[0:1], v[0:1], v[153:154]
	;; [unrolled: 1-line block ×3, first 2 shown]
	v_fma_f64 v[0:1], v[0:1], -0.5, v[167:168]
	v_fma_f64 v[18:19], v[10:11], s[22:23], v[0:1]
	v_fma_f64 v[14:15], v[10:11], s[24:25], v[0:1]
	v_add_f64 v[0:1], v[4:5], v[170:171]
	v_add_f64 v[124:125], v[0:1], v[2:3]
	;; [unrolled: 1-line block ×3, first 2 shown]
	v_add_f64 v[2:3], v[170:171], -v[2:3]
	v_fma_f64 v[0:1], v[0:1], -0.5, v[4:5]
	v_add_f64 v[4:5], v[174:175], -v[8:9]
	v_fma_f64 v[120:121], v[4:5], s[24:25], v[0:1]
	v_fma_f64 v[0:1], v[4:5], s[22:23], v[0:1]
	v_add_f64 v[4:5], v[6:7], v[174:175]
	v_add_f64 v[126:127], v[4:5], v[8:9]
	;; [unrolled: 1-line block ×3, first 2 shown]
	v_fma_f64 v[4:5], v[4:5], -0.5, v[6:7]
	v_fma_f64 v[122:123], v[2:3], s[22:23], v[4:5]
	v_fma_f64 v[2:3], v[2:3], s[24:25], v[4:5]
	buffer_load_dword v4, off, s[28:31], 0 offset:1016 ; 4-byte Folded Reload
	s_waitcnt vmcnt(0)
	ds_write_b128 v4, v[92:95]
	ds_write_b128 v4, v[88:91] offset:160
	ds_write_b128 v4, v[84:87] offset:320
	buffer_load_dword v4, off, s[28:31], 0 offset:900 ; 4-byte Folded Reload
	s_waitcnt vmcnt(0)
	ds_write_b128 v4, v[80:83]
	ds_write_b128 v4, v[76:79] offset:160
	ds_write_b128 v4, v[72:75] offset:320
	;; [unrolled: 5-line block ×8, first 2 shown]
	s_waitcnt lgkmcnt(0)
	s_barrier
	buffer_gl0_inv
	ds_read_b128 v[8:11], v130
	ds_read_b128 v[12:15], v130 offset:4800
	ds_read_b128 v[16:19], v130 offset:9600
	;; [unrolled: 1-line block ×29, first 2 shown]
	s_clause 0x3
	buffer_load_dword v76, off, s[28:31], 0 offset:680
	buffer_load_dword v77, off, s[28:31], 0 offset:684
	;; [unrolled: 1-line block ×4, first 2 shown]
	s_waitcnt vmcnt(0) lgkmcnt(28)
	v_mul_f64 v[40:41], v[78:79], v[14:15]
	v_fma_f64 v[147:148], v[76:77], v[12:13], v[40:41]
	v_mul_f64 v[12:13], v[78:79], v[12:13]
	v_fma_f64 v[40:41], v[76:77], v[14:15], -v[12:13]
	s_clause 0x3
	buffer_load_dword v76, off, s[28:31], 0 offset:664
	buffer_load_dword v77, off, s[28:31], 0 offset:668
	;; [unrolled: 1-line block ×4, first 2 shown]
	s_waitcnt vmcnt(0) lgkmcnt(27)
	v_mul_f64 v[12:13], v[78:79], v[18:19]
	v_fma_f64 v[149:150], v[76:77], v[16:17], v[12:13]
	v_mul_f64 v[12:13], v[78:79], v[16:17]
	s_clause 0x3
	buffer_load_dword v14, off, s[28:31], 0 offset:700
	buffer_load_dword v15, off, s[28:31], 0 offset:704
	buffer_load_dword v16, off, s[28:31], 0 offset:708
	buffer_load_dword v17, off, s[28:31], 0 offset:712
	v_fma_f64 v[151:152], v[76:77], v[18:19], -v[12:13]
	s_waitcnt vmcnt(0) lgkmcnt(26)
	v_mul_f64 v[12:13], v[16:17], v[22:23]
	v_fma_f64 v[153:154], v[14:15], v[20:21], v[12:13]
	v_mul_f64 v[12:13], v[16:17], v[20:21]
	v_fma_f64 v[42:43], v[14:15], v[22:23], -v[12:13]
	s_clause 0x3
	buffer_load_dword v14, off, s[28:31], 0 offset:716
	buffer_load_dword v15, off, s[28:31], 0 offset:720
	;; [unrolled: 1-line block ×4, first 2 shown]
	s_waitcnt vmcnt(0) lgkmcnt(25)
	v_mul_f64 v[12:13], v[16:17], v[26:27]
	v_fma_f64 v[157:158], v[14:15], v[24:25], v[12:13]
	v_mul_f64 v[12:13], v[16:17], v[24:25]
	v_fma_f64 v[165:166], v[14:15], v[26:27], -v[12:13]
	s_clause 0x3
	buffer_load_dword v14, off, s[28:31], 0 offset:736
	buffer_load_dword v15, off, s[28:31], 0 offset:740
	;; [unrolled: 1-line block ×4, first 2 shown]
	s_waitcnt vmcnt(0) lgkmcnt(24)
	v_mul_f64 v[12:13], v[16:17], v[30:31]
	v_fma_f64 v[167:168], v[14:15], v[28:29], v[12:13]
	v_mul_f64 v[12:13], v[16:17], v[28:29]
	s_clause 0xb
	buffer_load_dword v16, off, s[28:31], 0 offset:768
	buffer_load_dword v17, off, s[28:31], 0 offset:772
	;; [unrolled: 1-line block ×12, first 2 shown]
	v_fma_f64 v[170:171], v[14:15], v[30:31], -v[12:13]
	s_waitcnt vmcnt(8) lgkmcnt(23)
	v_mul_f64 v[12:13], v[18:19], v[34:35]
	v_mul_f64 v[14:15], v[18:19], v[32:33]
	s_waitcnt vmcnt(4) lgkmcnt(22)
	v_mul_f64 v[18:19], v[22:23], v[36:37]
	v_fma_f64 v[12:13], v[16:17], v[32:33], v[12:13]
	s_clause 0x3
	buffer_load_dword v30, off, s[28:31], 0 offset:800
	buffer_load_dword v31, off, s[28:31], 0 offset:804
	;; [unrolled: 1-line block ×4, first 2 shown]
	v_fma_f64 v[14:15], v[16:17], v[34:35], -v[14:15]
	v_mul_f64 v[16:17], v[22:23], v[38:39]
	v_fma_f64 v[22:23], v[20:21], v[38:39], -v[18:19]
	s_waitcnt vmcnt(4) lgkmcnt(21)
	v_mul_f64 v[18:19], v[28:29], v[46:47]
	v_fma_f64 v[16:17], v[20:21], v[36:37], v[16:17]
	v_fma_f64 v[24:25], v[26:27], v[44:45], v[18:19]
	v_mul_f64 v[18:19], v[28:29], v[44:45]
	v_fma_f64 v[26:27], v[26:27], v[46:47], -v[18:19]
	s_waitcnt vmcnt(0) lgkmcnt(20)
	v_mul_f64 v[18:19], v[32:33], v[50:51]
	v_fma_f64 v[28:29], v[30:31], v[48:49], v[18:19]
	v_mul_f64 v[18:19], v[32:33], v[48:49]
	s_waitcnt lgkmcnt(0)
	v_mul_f64 v[48:49], v[178:179], v[72:73]
	v_fma_f64 v[50:51], v[30:31], v[50:51], -v[18:19]
	s_clause 0x3
	buffer_load_dword v30, off, s[28:31], 0 offset:920
	buffer_load_dword v31, off, s[28:31], 0 offset:924
	;; [unrolled: 1-line block ×4, first 2 shown]
	s_waitcnt vmcnt(0)
	v_mul_f64 v[18:19], v[32:33], v[54:55]
	v_fma_f64 v[76:77], v[30:31], v[52:53], v[18:19]
	v_mul_f64 v[18:19], v[32:33], v[52:53]
	v_fma_f64 v[128:129], v[30:31], v[54:55], -v[18:19]
	s_clause 0x3
	buffer_load_dword v30, off, s[28:31], 0 offset:952
	buffer_load_dword v31, off, s[28:31], 0 offset:956
	;; [unrolled: 1-line block ×4, first 2 shown]
	s_waitcnt vmcnt(0)
	v_mul_f64 v[18:19], v[32:33], v[58:59]
	v_fma_f64 v[90:91], v[30:31], v[56:57], v[18:19]
	v_mul_f64 v[18:19], v[32:33], v[56:57]
	v_add_f64 v[56:57], v[151:152], -v[26:27]
	v_fma_f64 v[86:87], v[30:31], v[58:59], -v[18:19]
	s_clause 0x3
	buffer_load_dword v30, off, s[28:31], 0 offset:968
	buffer_load_dword v31, off, s[28:31], 0 offset:972
	;; [unrolled: 1-line block ×4, first 2 shown]
	v_add_f64 v[58:59], v[149:150], -v[157:158]
	s_waitcnt vmcnt(0)
	v_mul_f64 v[18:19], v[32:33], v[62:63]
	v_fma_f64 v[173:174], v[30:31], v[60:61], v[18:19]
	v_mul_f64 v[18:19], v[32:33], v[60:61]
	v_add_f64 v[60:61], v[165:166], -v[14:15]
	v_fma_f64 v[163:164], v[30:31], v[62:63], -v[18:19]
	s_clause 0x3
	buffer_load_dword v30, off, s[28:31], 0 offset:936
	buffer_load_dword v31, off, s[28:31], 0 offset:940
	;; [unrolled: 1-line block ×4, first 2 shown]
	v_add_f64 v[62:63], v[24:25], -v[12:13]
	v_add_f64 v[58:59], v[58:59], v[62:63]
	v_add_f64 v[62:63], v[157:158], -v[149:150]
	s_waitcnt vmcnt(0)
	v_mul_f64 v[18:19], v[32:33], v[66:67]
	v_fma_f64 v[94:95], v[30:31], v[64:65], v[18:19]
	v_mul_f64 v[18:19], v[32:33], v[64:65]
	v_add_f64 v[64:65], v[12:13], -v[24:25]
	v_fma_f64 v[92:93], v[30:31], v[66:67], -v[18:19]
	s_clause 0x3
	buffer_load_dword v30, off, s[28:31], 0 offset:1100
	buffer_load_dword v31, off, s[28:31], 0 offset:1104
	;; [unrolled: 1-line block ×4, first 2 shown]
	v_add_f64 v[62:63], v[62:63], v[64:65]
	v_add_f64 v[64:65], v[153:154], -v[167:168]
	s_waitcnt vmcnt(0)
	v_mul_f64 v[18:19], v[32:33], v[82:83]
	v_fma_f64 v[78:79], v[30:31], v[80:81], v[18:19]
	v_mul_f64 v[18:19], v[32:33], v[80:81]
	v_fma_f64 v[44:45], v[30:31], v[82:83], -v[18:19]
	s_clause 0x3
	buffer_load_dword v30, off, s[28:31], 0 offset:1196
	buffer_load_dword v31, off, s[28:31], 0 offset:1200
	;; [unrolled: 1-line block ×4, first 2 shown]
	s_waitcnt vmcnt(0)
	v_mul_f64 v[18:19], v[32:33], v[102:103]
	v_fma_f64 v[98:99], v[30:31], v[100:101], v[18:19]
	v_mul_f64 v[18:19], v[32:33], v[100:101]
	v_fma_f64 v[96:97], v[30:31], v[102:103], -v[18:19]
	s_clause 0x3
	buffer_load_dword v30, off, s[28:31], 0 offset:1212
	buffer_load_dword v31, off, s[28:31], 0 offset:1216
	;; [unrolled: 1-line block ×4, first 2 shown]
	s_waitcnt vmcnt(0)
	v_mul_f64 v[18:19], v[32:33], v[106:107]
	v_fma_f64 v[82:83], v[30:31], v[104:105], v[18:19]
	v_mul_f64 v[18:19], v[32:33], v[104:105]
	v_add_f64 v[104:105], v[50:51], -v[22:23]
	v_fma_f64 v[80:81], v[30:31], v[106:107], -v[18:19]
	s_clause 0x3
	buffer_load_dword v30, off, s[28:31], 0 offset:1148
	buffer_load_dword v31, off, s[28:31], 0 offset:1152
	buffer_load_dword v32, off, s[28:31], 0 offset:1156
	buffer_load_dword v33, off, s[28:31], 0 offset:1160
	s_waitcnt vmcnt(0)
	v_mul_f64 v[18:19], v[32:33], v[110:111]
	v_fma_f64 v[118:119], v[30:31], v[108:109], v[18:19]
	v_mul_f64 v[18:19], v[32:33], v[108:109]
	v_fma_f64 v[116:117], v[30:31], v[110:111], -v[18:19]
	s_clause 0x3
	buffer_load_dword v30, off, s[28:31], 0 offset:1244
	buffer_load_dword v31, off, s[28:31], 0 offset:1248
	buffer_load_dword v32, off, s[28:31], 0 offset:1252
	buffer_load_dword v33, off, s[28:31], 0 offset:1256
	s_waitcnt vmcnt(0)
	v_mul_f64 v[18:19], v[32:33], v[114:115]
	v_fma_f64 v[88:89], v[30:31], v[112:113], v[18:19]
	v_mul_f64 v[18:19], v[32:33], v[112:113]
	;; [unrolled: 10-line block ×3, first 2 shown]
	v_fma_f64 v[46:47], v[30:31], v[122:123], -v[18:19]
	s_clause 0x7
	buffer_load_dword v30, off, s[28:31], 0 offset:1292
	buffer_load_dword v31, off, s[28:31], 0 offset:1296
	;; [unrolled: 1-line block ×8, first 2 shown]
	s_waitcnt vmcnt(4)
	v_mul_f64 v[18:19], v[32:33], v[126:127]
	v_fma_f64 v[36:37], v[30:31], v[124:125], v[18:19]
	v_mul_f64 v[18:19], v[32:33], v[124:125]
	v_fma_f64 v[32:33], v[30:31], v[126:127], -v[18:19]
	s_waitcnt vmcnt(0)
	v_mul_f64 v[18:19], v[54:55], v[133:134]
	v_mul_f64 v[30:31], v[54:55], v[131:132]
	v_fma_f64 v[18:19], v[52:53], v[131:132], v[18:19]
	v_fma_f64 v[131:132], v[52:53], v[133:134], -v[30:31]
	s_clause 0x3
	buffer_load_dword v52, off, s[28:31], 0 offset:1324
	buffer_load_dword v53, off, s[28:31], 0 offset:1328
	;; [unrolled: 1-line block ×4, first 2 shown]
	s_waitcnt vmcnt(0)
	v_mul_f64 v[30:31], v[54:55], v[137:138]
	v_fma_f64 v[100:101], v[52:53], v[135:136], v[30:31]
	v_mul_f64 v[30:31], v[54:55], v[135:136]
	v_fma_f64 v[34:35], v[52:53], v[137:138], -v[30:31]
	s_clause 0x3
	buffer_load_dword v52, off, s[28:31], 0 offset:1372
	buffer_load_dword v53, off, s[28:31], 0 offset:1376
	buffer_load_dword v54, off, s[28:31], 0 offset:1380
	buffer_load_dword v55, off, s[28:31], 0 offset:1384
	v_mul_f64 v[30:31], v[186:187], v[141:142]
	s_waitcnt vmcnt(0)
	s_barrier
	buffer_gl0_inv
	v_fma_f64 v[137:138], v[184:185], v[139:140], v[30:31]
	v_mul_f64 v[30:31], v[186:187], v[139:140]
	v_fma_f64 v[133:134], v[184:185], v[141:142], -v[30:31]
	v_mul_f64 v[30:31], v[250:251], v[145:146]
	v_fma_f64 v[141:142], v[176:177], v[74:75], -v[48:49]
	v_add_f64 v[48:49], v[8:9], v[149:150]
	v_fma_f64 v[108:109], v[248:249], v[143:144], v[30:31]
	v_mul_f64 v[30:31], v[250:251], v[143:144]
	v_add_f64 v[48:49], v[48:49], v[157:158]
	v_fma_f64 v[38:39], v[248:249], v[145:146], -v[30:31]
	v_mul_f64 v[30:31], v[254:255], v[161:162]
	v_add_f64 v[48:49], v[48:49], v[12:13]
	v_fma_f64 v[139:140], v[252:253], v[159:160], v[30:31]
	v_mul_f64 v[30:31], v[254:255], v[159:160]
	v_add_f64 v[48:49], v[48:49], v[24:25]
	v_fma_f64 v[135:136], v[252:253], v[161:162], -v[30:31]
	v_mul_f64 v[30:31], v[54:55], v[70:71]
	v_fma_f64 v[110:111], v[52:53], v[68:69], v[30:31]
	v_mul_f64 v[30:31], v[54:55], v[68:69]
	v_fma_f64 v[102:103], v[52:53], v[70:71], -v[30:31]
	v_add_f64 v[52:53], v[157:158], v[12:13]
	v_add_f64 v[70:71], v[28:29], -v[16:17]
	v_mul_f64 v[30:31], v[178:179], v[74:75]
	v_add_f64 v[74:75], v[16:17], -v[28:29]
	v_fma_f64 v[54:55], v[52:53], -0.5, v[8:9]
	v_add_f64 v[64:65], v[64:65], v[70:71]
	v_fma_f64 v[30:31], v[176:177], v[72:73], v[30:31]
	v_add_f64 v[72:73], v[167:168], -v[153:154]
	v_fma_f64 v[52:53], v[56:57], s[8:9], v[54:55]
	v_fma_f64 v[54:55], v[56:57], s[4:5], v[54:55]
	v_add_f64 v[72:73], v[72:73], v[74:75]
	v_add_f64 v[74:75], v[42:43], -v[170:171]
	v_fma_f64 v[52:53], v[60:61], s[14:15], v[52:53]
	v_fma_f64 v[54:55], v[60:61], s[2:3], v[54:55]
	v_add_f64 v[74:75], v[74:75], v[104:105]
	v_fma_f64 v[52:53], v[58:59], s[6:7], v[52:53]
	v_fma_f64 v[58:59], v[58:59], s[6:7], v[54:55]
	v_add_f64 v[54:55], v[149:150], v[24:25]
	v_add_f64 v[24:25], v[149:150], -v[24:25]
	v_fma_f64 v[8:9], v[54:55], -0.5, v[8:9]
	v_fma_f64 v[54:55], v[60:61], s[4:5], v[8:9]
	v_fma_f64 v[8:9], v[60:61], s[8:9], v[8:9]
	v_add_f64 v[60:61], v[26:27], -v[14:15]
	v_fma_f64 v[54:55], v[56:57], s[14:15], v[54:55]
	v_fma_f64 v[8:9], v[56:57], s[2:3], v[8:9]
	v_add_f64 v[56:57], v[157:158], -v[12:13]
	v_fma_f64 v[66:67], v[62:63], s[6:7], v[54:55]
	v_fma_f64 v[62:63], v[62:63], s[6:7], v[8:9]
	v_add_f64 v[8:9], v[10:11], v[151:152]
	v_add_f64 v[8:9], v[8:9], v[165:166]
	;; [unrolled: 1-line block ×5, first 2 shown]
	v_add_f64 v[14:15], v[14:15], -v[26:27]
	v_fma_f64 v[8:9], v[8:9], -0.5, v[10:11]
	v_fma_f64 v[54:55], v[24:25], s[4:5], v[8:9]
	v_fma_f64 v[8:9], v[24:25], s[8:9], v[8:9]
	;; [unrolled: 1-line block ×3, first 2 shown]
	v_add_f64 v[54:55], v[151:152], -v[165:166]
	v_fma_f64 v[8:9], v[56:57], s[14:15], v[8:9]
	v_add_f64 v[60:61], v[54:55], v[60:61]
	v_fma_f64 v[54:55], v[60:61], s[6:7], v[12:13]
	v_add_f64 v[12:13], v[151:152], v[26:27]
	v_fma_f64 v[8:9], v[60:61], s[6:7], v[8:9]
	v_add_f64 v[60:61], v[165:166], -v[151:152]
	v_add_f64 v[26:27], v[42:43], -v[50:51]
	v_fma_f64 v[10:11], v[12:13], -0.5, v[10:11]
	v_add_f64 v[14:15], v[60:61], v[14:15]
	v_add_f64 v[60:61], v[170:171], -v[22:23]
	v_fma_f64 v[12:13], v[56:57], s[8:9], v[10:11]
	v_fma_f64 v[10:11], v[56:57], s[4:5], v[10:11]
	;; [unrolled: 1-line block ×4, first 2 shown]
	v_add_f64 v[24:25], v[167:168], v[16:17]
	v_fma_f64 v[12:13], v[14:15], s[6:7], v[12:13]
	v_fma_f64 v[10:11], v[14:15], s[6:7], v[10:11]
	v_fma_f64 v[24:25], v[24:25], -0.5, v[147:148]
	v_add_f64 v[14:15], v[147:148], v[153:154]
	v_fma_f64 v[56:57], v[26:27], s[8:9], v[24:25]
	v_fma_f64 v[24:25], v[26:27], s[4:5], v[24:25]
	v_add_f64 v[14:15], v[14:15], v[167:168]
	v_fma_f64 v[56:57], v[60:61], s[14:15], v[56:57]
	v_fma_f64 v[24:25], v[60:61], s[2:3], v[24:25]
	v_add_f64 v[14:15], v[14:15], v[16:17]
	v_add_f64 v[16:17], v[167:168], -v[16:17]
	v_fma_f64 v[56:57], v[64:65], s[6:7], v[56:57]
	v_fma_f64 v[24:25], v[64:65], s[6:7], v[24:25]
	v_add_f64 v[64:65], v[153:154], v[28:29]
	v_add_f64 v[14:15], v[14:15], v[28:29]
	v_add_f64 v[28:29], v[153:154], -v[28:29]
	v_fma_f64 v[64:65], v[64:65], -0.5, v[147:148]
	v_add_f64 v[120:121], v[48:49], v[14:15]
	v_fma_f64 v[70:71], v[60:61], s[4:5], v[64:65]
	v_fma_f64 v[60:61], v[60:61], s[8:9], v[64:65]
	;; [unrolled: 1-line block ×4, first 2 shown]
	v_add_f64 v[60:61], v[40:41], v[42:43]
	v_fma_f64 v[70:71], v[72:73], s[6:7], v[70:71]
	v_fma_f64 v[26:27], v[72:73], s[6:7], v[26:27]
	v_add_f64 v[60:61], v[60:61], v[170:171]
	v_add_f64 v[60:61], v[60:61], v[22:23]
	;; [unrolled: 1-line block ×4, first 2 shown]
	v_add_f64 v[22:23], v[22:23], -v[50:51]
	v_add_f64 v[122:123], v[68:69], v[72:73]
	v_fma_f64 v[60:61], v[60:61], -0.5, v[40:41]
	v_fma_f64 v[64:65], v[28:29], s[4:5], v[60:61]
	v_fma_f64 v[60:61], v[28:29], s[8:9], v[60:61]
	;; [unrolled: 1-line block ×6, first 2 shown]
	v_add_f64 v[74:75], v[42:43], v[50:51]
	v_add_f64 v[42:43], v[170:171], -v[42:43]
	v_fma_f64 v[40:41], v[74:75], -0.5, v[40:41]
	v_add_f64 v[22:23], v[42:43], v[22:23]
	v_fma_f64 v[74:75], v[16:17], s[8:9], v[40:41]
	v_fma_f64 v[16:17], v[16:17], s[4:5], v[40:41]
	v_fma_f64 v[74:75], v[28:29], s[2:3], v[74:75]
	v_fma_f64 v[16:17], v[28:29], s[14:15], v[16:17]
	v_fma_f64 v[42:43], v[22:23], s[6:7], v[74:75]
	v_fma_f64 v[16:17], v[22:23], s[6:7], v[16:17]
	v_mul_f64 v[22:23], v[64:65], s[14:15]
	v_mul_f64 v[64:65], v[64:65], s[20:21]
	;; [unrolled: 1-line block ×5, first 2 shown]
	v_fma_f64 v[22:23], v[56:57], s[20:21], v[22:23]
	v_fma_f64 v[143:144], v[56:57], s[2:3], v[64:65]
	v_mul_f64 v[42:43], v[42:43], s[6:7]
	v_add_f64 v[64:65], v[48:49], -v[14:15]
	v_fma_f64 v[28:29], v[70:71], s[6:7], v[28:29]
	v_fma_f64 v[50:51], v[26:27], s[16:17], v[40:41]
	v_mul_f64 v[40:41], v[60:61], s[14:15]
	v_fma_f64 v[16:17], v[26:27], s[4:5], v[16:17]
	v_add_f64 v[112:113], v[52:53], v[22:23]
	v_add_f64 v[114:115], v[54:55], v[143:144]
	v_fma_f64 v[70:71], v[70:71], s[4:5], v[42:43]
	v_mul_f64 v[26:27], v[60:61], s[18:19]
	v_add_f64 v[60:61], v[52:53], -v[22:23]
	v_add_f64 v[22:23], v[90:91], -v[94:95]
	v_add_f64 v[104:105], v[66:67], v[28:29]
	v_add_f64 v[124:125], v[62:63], v[50:51]
	v_fma_f64 v[74:75], v[24:25], s[18:19], v[40:41]
	v_add_f64 v[126:127], v[10:11], v[16:17]
	v_add_f64 v[52:53], v[62:63], -v[50:51]
	v_add_f64 v[62:63], v[54:55], -v[143:144]
	;; [unrolled: 1-line block ×3, first 2 shown]
	v_add_f64 v[10:11], v[94:95], v[98:99]
	v_add_f64 v[106:107], v[12:13], v[70:71]
	v_fma_f64 v[24:25], v[24:25], s[2:3], v[26:27]
	v_add_f64 v[16:17], v[92:93], -v[96:97]
	v_add_f64 v[26:27], v[98:99], -v[118:119]
	;; [unrolled: 1-line block ×7, first 2 shown]
	v_add_f64 v[40:41], v[58:59], v[74:75]
	v_add_f64 v[48:49], v[58:59], -v[74:75]
	v_add_f64 v[58:59], v[12:13], -v[70:71]
	;; [unrolled: 1-line block ×4, first 2 shown]
	v_fma_f64 v[10:11], v[10:11], -0.5, v[4:5]
	v_add_f64 v[42:43], v[8:9], v[24:25]
	v_add_f64 v[50:51], v[8:9], -v[24:25]
	v_add_f64 v[24:25], v[118:119], -v[98:99]
	v_add_f64 v[8:9], v[4:5], v[90:91]
	v_add_f64 v[68:69], v[68:69], v[70:71]
	v_fma_f64 v[14:15], v[12:13], s[8:9], v[10:11]
	v_fma_f64 v[10:11], v[12:13], s[4:5], v[10:11]
	v_add_f64 v[70:71], v[92:93], -v[86:87]
	v_add_f64 v[22:23], v[22:23], v[24:25]
	v_add_f64 v[24:25], v[94:95], -v[90:91]
	v_add_f64 v[8:9], v[8:9], v[94:95]
	v_fma_f64 v[14:15], v[16:17], s[14:15], v[14:15]
	v_fma_f64 v[10:11], v[16:17], s[2:3], v[10:11]
	v_add_f64 v[70:71], v[70:71], v[72:73]
	v_add_f64 v[72:73], v[44:45], -v[80:81]
	v_add_f64 v[24:25], v[24:25], v[26:27]
	v_add_f64 v[8:9], v[8:9], v[98:99]
	v_fma_f64 v[14:15], v[22:23], s[6:7], v[14:15]
	v_fma_f64 v[10:11], v[22:23], s[6:7], v[10:11]
	v_add_f64 v[22:23], v[90:91], v[118:119]
	v_add_f64 v[8:9], v[8:9], v[118:119]
	v_fma_f64 v[4:5], v[22:23], -0.5, v[4:5]
	v_fma_f64 v[22:23], v[16:17], s[4:5], v[4:5]
	v_fma_f64 v[4:5], v[16:17], s[8:9], v[4:5]
	v_add_f64 v[16:17], v[92:93], v[96:97]
	v_fma_f64 v[22:23], v[12:13], s[14:15], v[22:23]
	v_fma_f64 v[4:5], v[12:13], s[2:3], v[4:5]
	v_fma_f64 v[16:17], v[16:17], -0.5, v[6:7]
	v_add_f64 v[12:13], v[6:7], v[86:87]
	v_fma_f64 v[22:23], v[24:25], s[6:7], v[22:23]
	v_fma_f64 v[4:5], v[24:25], s[6:7], v[4:5]
	v_add_f64 v[24:25], v[90:91], -v[118:119]
	v_add_f64 v[90:91], v[88:89], -v[82:83]
	v_add_f64 v[12:13], v[12:13], v[92:93]
	v_add_f64 v[92:93], v[82:83], -v[88:89]
	v_fma_f64 v[26:27], v[24:25], s[4:5], v[16:17]
	v_fma_f64 v[16:17], v[24:25], s[8:9], v[16:17]
	v_add_f64 v[12:13], v[12:13], v[96:97]
	v_fma_f64 v[26:27], v[28:29], s[2:3], v[26:27]
	v_fma_f64 v[16:17], v[28:29], s[14:15], v[16:17]
	v_add_f64 v[12:13], v[12:13], v[116:117]
	;; [unrolled: 3-line block ×3, first 2 shown]
	v_add_f64 v[86:87], v[173:174], -v[78:79]
	v_fma_f64 v[6:7], v[68:69], -0.5, v[6:7]
	v_add_f64 v[86:87], v[86:87], v[90:91]
	v_add_f64 v[90:91], v[78:79], -v[173:174]
	v_fma_f64 v[68:69], v[28:29], s[8:9], v[6:7]
	v_fma_f64 v[6:7], v[28:29], s[4:5], v[6:7]
	v_add_f64 v[28:29], v[78:79], v[82:83]
	v_add_f64 v[90:91], v[90:91], v[92:93]
	v_fma_f64 v[68:69], v[24:25], s[2:3], v[68:69]
	v_fma_f64 v[6:7], v[24:25], s[14:15], v[6:7]
	v_fma_f64 v[28:29], v[28:29], -0.5, v[76:77]
	v_add_f64 v[24:25], v[76:77], v[173:174]
	v_fma_f64 v[74:75], v[70:71], s[6:7], v[68:69]
	v_add_f64 v[68:69], v[163:164], -v[84:85]
	v_fma_f64 v[6:7], v[70:71], s[6:7], v[6:7]
	v_add_f64 v[24:25], v[24:25], v[78:79]
	v_add_f64 v[78:79], v[78:79], -v[82:83]
	v_fma_f64 v[70:71], v[68:69], s[8:9], v[28:29]
	v_fma_f64 v[28:29], v[68:69], s[4:5], v[28:29]
	v_add_f64 v[24:25], v[24:25], v[82:83]
	v_fma_f64 v[70:71], v[72:73], s[14:15], v[70:71]
	v_fma_f64 v[28:29], v[72:73], s[2:3], v[28:29]
	v_add_f64 v[24:25], v[24:25], v[88:89]
	;; [unrolled: 3-line block ×3, first 2 shown]
	v_add_f64 v[176:177], v[8:9], v[24:25]
	v_add_f64 v[184:185], v[8:9], -v[24:25]
	v_add_f64 v[8:9], v[32:33], -v[102:103]
	v_fma_f64 v[76:77], v[86:87], -0.5, v[76:77]
	v_fma_f64 v[86:87], v[72:73], s[4:5], v[76:77]
	v_fma_f64 v[72:73], v[72:73], s[8:9], v[76:77]
	v_add_f64 v[76:77], v[173:174], -v[88:89]
	v_fma_f64 v[86:87], v[68:69], s[14:15], v[86:87]
	v_fma_f64 v[68:69], v[68:69], s[2:3], v[72:73]
	v_add_f64 v[72:73], v[128:129], v[163:164]
	v_fma_f64 v[86:87], v[90:91], s[6:7], v[86:87]
	v_fma_f64 v[68:69], v[90:91], s[6:7], v[68:69]
	v_add_f64 v[72:73], v[72:73], v[44:45]
	v_add_f64 v[90:91], v[84:85], -v[80:81]
	v_add_f64 v[72:73], v[72:73], v[80:81]
	v_add_f64 v[94:95], v[72:73], v[84:85]
	v_add_f64 v[72:73], v[44:45], v[80:81]
	v_add_f64 v[80:81], v[80:81], -v[84:85]
	v_add_f64 v[178:179], v[12:13], v[94:95]
	v_fma_f64 v[72:73], v[72:73], -0.5, v[128:129]
	v_add_f64 v[186:187], v[12:13], -v[94:95]
	v_add_f64 v[12:13], v[34:35], -v[38:39]
	v_fma_f64 v[88:89], v[76:77], s[4:5], v[72:73]
	v_fma_f64 v[72:73], v[76:77], s[8:9], v[72:73]
	;; [unrolled: 1-line block ×3, first 2 shown]
	v_add_f64 v[88:89], v[163:164], -v[44:45]
	v_fma_f64 v[72:73], v[78:79], s[14:15], v[72:73]
	v_add_f64 v[44:45], v[44:45], -v[163:164]
	v_add_f64 v[88:89], v[88:89], v[90:91]
	v_add_f64 v[44:45], v[44:45], v[80:81]
	v_fma_f64 v[82:83], v[88:89], s[6:7], v[82:83]
	v_fma_f64 v[72:73], v[88:89], s[6:7], v[72:73]
	v_add_f64 v[88:89], v[163:164], v[84:85]
	v_fma_f64 v[88:89], v[88:89], -0.5, v[128:129]
	v_fma_f64 v[90:91], v[78:79], s[8:9], v[88:89]
	v_fma_f64 v[78:79], v[78:79], s[4:5], v[88:89]
	;; [unrolled: 1-line block ×4, first 2 shown]
	v_mul_f64 v[78:79], v[82:83], s[20:21]
	v_fma_f64 v[80:81], v[44:45], s[6:7], v[90:91]
	v_fma_f64 v[44:45], v[44:45], s[6:7], v[76:77]
	v_mul_f64 v[76:77], v[82:83], s[14:15]
	v_fma_f64 v[92:93], v[70:71], s[20:21], v[76:77]
	v_mul_f64 v[76:77], v[80:81], s[8:9]
	;; [unrolled: 2-line block ×3, first 2 shown]
	v_add_f64 v[96:97], v[14:15], v[92:93]
	v_fma_f64 v[116:117], v[86:87], s[6:7], v[76:77]
	v_mul_f64 v[76:77], v[44:45], s[8:9]
	v_mul_f64 v[44:45], v[44:45], s[16:17]
	v_fma_f64 v[82:83], v[86:87], s[4:5], v[78:79]
	v_add_f64 v[98:99], v[26:27], v[70:71]
	v_add_f64 v[92:93], v[14:15], -v[92:93]
	v_add_f64 v[94:95], v[26:27], -v[70:71]
	;; [unrolled: 1-line block ×3, first 2 shown]
	v_add_f64 v[88:89], v[22:23], v[116:117]
	v_fma_f64 v[118:119], v[68:69], s[16:17], v[76:77]
	v_fma_f64 v[44:45], v[68:69], s[4:5], v[44:45]
	v_mul_f64 v[76:77], v[72:73], s[14:15]
	v_add_f64 v[90:91], v[74:75], v[82:83]
	v_mul_f64 v[68:69], v[72:73], s[18:19]
	v_add_f64 v[82:83], v[74:75], -v[82:83]
	v_add_f64 v[80:81], v[22:23], -v[116:117]
	;; [unrolled: 1-line block ×3, first 2 shown]
	v_add_f64 v[84:85], v[4:5], v[118:119]
	v_add_f64 v[86:87], v[6:7], v[44:45]
	v_add_f64 v[74:75], v[6:7], -v[44:45]
	v_add_f64 v[6:7], v[100:101], v[108:109]
	v_fma_f64 v[128:129], v[28:29], s[18:19], v[76:77]
	v_fma_f64 v[28:29], v[28:29], s[2:3], v[68:69]
	v_add_f64 v[72:73], v[4:5], -v[118:119]
	v_add_f64 v[4:5], v[0:1], v[36:37]
	v_fma_f64 v[6:7], v[6:7], -0.5, v[0:1]
	v_add_f64 v[76:77], v[10:11], v[128:129]
	v_add_f64 v[78:79], v[16:17], v[28:29]
	v_add_f64 v[68:69], v[10:11], -v[128:129]
	v_add_f64 v[70:71], v[16:17], -v[28:29]
	;; [unrolled: 1-line block ×4, first 2 shown]
	v_add_f64 v[4:5], v[4:5], v[100:101]
	v_fma_f64 v[10:11], v[8:9], s[8:9], v[6:7]
	v_fma_f64 v[6:7], v[8:9], s[4:5], v[6:7]
	v_add_f64 v[14:15], v[14:15], v[16:17]
	v_add_f64 v[16:17], v[108:109], -v[110:111]
	v_add_f64 v[22:23], v[22:23], v[28:29]
	v_add_f64 v[28:29], v[18:19], -v[137:138]
	v_add_f64 v[4:5], v[4:5], v[108:109]
	v_fma_f64 v[10:11], v[12:13], s[14:15], v[10:11]
	v_fma_f64 v[6:7], v[12:13], s[2:3], v[6:7]
	v_add_f64 v[4:5], v[4:5], v[110:111]
	v_fma_f64 v[24:25], v[14:15], s[6:7], v[10:11]
	v_add_f64 v[10:11], v[36:37], v[110:111]
	v_fma_f64 v[6:7], v[14:15], s[6:7], v[6:7]
	v_add_f64 v[14:15], v[100:101], -v[36:37]
	v_fma_f64 v[0:1], v[10:11], -0.5, v[0:1]
	v_add_f64 v[14:15], v[14:15], v[16:17]
	v_add_f64 v[16:17], v[100:101], -v[108:109]
	v_fma_f64 v[10:11], v[12:13], s[4:5], v[0:1]
	v_fma_f64 v[0:1], v[12:13], s[8:9], v[0:1]
	;; [unrolled: 1-line block ×4, first 2 shown]
	v_add_f64 v[8:9], v[2:3], v[32:33]
	v_fma_f64 v[26:27], v[14:15], s[6:7], v[10:11]
	v_fma_f64 v[0:1], v[14:15], s[6:7], v[0:1]
	v_add_f64 v[8:9], v[8:9], v[34:35]
	v_add_f64 v[10:11], v[36:37], -v[110:111]
	v_add_f64 v[8:9], v[8:9], v[38:39]
	v_add_f64 v[14:15], v[8:9], v[102:103]
	;; [unrolled: 1-line block ×3, first 2 shown]
	v_fma_f64 v[8:9], v[8:9], -0.5, v[2:3]
	v_fma_f64 v[12:13], v[10:11], s[4:5], v[8:9]
	v_fma_f64 v[8:9], v[10:11], s[8:9], v[8:9]
	;; [unrolled: 1-line block ×6, first 2 shown]
	v_add_f64 v[8:9], v[32:33], v[102:103]
	v_add_f64 v[12:13], v[34:35], -v[32:33]
	v_add_f64 v[22:23], v[38:39], -v[102:103]
	;; [unrolled: 1-line block ×3, first 2 shown]
	v_fma_f64 v[2:3], v[8:9], -0.5, v[2:3]
	v_add_f64 v[12:13], v[12:13], v[22:23]
	v_add_f64 v[22:23], v[133:134], -v[135:136]
	v_add_f64 v[28:29], v[28:29], v[32:33]
	v_fma_f64 v[8:9], v[16:17], s[8:9], v[2:3]
	v_fma_f64 v[2:3], v[16:17], s[4:5], v[2:3]
	;; [unrolled: 1-line block ×4, first 2 shown]
	v_add_f64 v[10:11], v[131:132], -v[141:142]
	v_fma_f64 v[102:103], v[12:13], s[6:7], v[8:9]
	v_add_f64 v[8:9], v[20:21], v[18:19]
	v_fma_f64 v[2:3], v[12:13], s[6:7], v[2:3]
	v_add_f64 v[8:9], v[8:9], v[137:138]
	v_add_f64 v[8:9], v[8:9], v[139:140]
	;; [unrolled: 1-line block ×5, first 2 shown]
	v_fma_f64 v[8:9], v[8:9], -0.5, v[20:21]
	v_fma_f64 v[16:17], v[10:11], s[8:9], v[8:9]
	v_fma_f64 v[8:9], v[10:11], s[4:5], v[8:9]
	v_fma_f64 v[16:17], v[22:23], s[14:15], v[16:17]
	v_fma_f64 v[8:9], v[22:23], s[2:3], v[8:9]
	v_fma_f64 v[36:37], v[28:29], s[6:7], v[16:17]
	v_fma_f64 v[38:39], v[28:29], s[6:7], v[8:9]
	v_add_f64 v[8:9], v[18:19], v[30:31]
	v_add_f64 v[28:29], v[139:140], -v[30:31]
	v_fma_f64 v[8:9], v[8:9], -0.5, v[20:21]
	v_add_f64 v[20:21], v[137:138], -v[18:19]
	v_fma_f64 v[16:17], v[22:23], s[4:5], v[8:9]
	v_fma_f64 v[8:9], v[22:23], s[8:9], v[8:9]
	v_add_f64 v[20:21], v[20:21], v[28:29]
	v_add_f64 v[22:23], v[131:132], -v[133:134]
	v_add_f64 v[28:29], v[141:142], -v[135:136]
	v_fma_f64 v[16:17], v[10:11], s[14:15], v[16:17]
	v_fma_f64 v[8:9], v[10:11], s[2:3], v[8:9]
	v_add_f64 v[22:23], v[22:23], v[28:29]
	v_add_f64 v[28:29], v[133:134], -v[131:132]
	v_fma_f64 v[108:109], v[20:21], s[6:7], v[16:17]
	v_fma_f64 v[10:11], v[20:21], s[6:7], v[8:9]
	v_add_f64 v[8:9], v[46:47], v[131:132]
	v_add_f64 v[16:17], v[18:19], -v[30:31]
	v_add_f64 v[20:21], v[137:138], -v[139:140]
	;; [unrolled: 1-line block ×3, first 2 shown]
	v_add_f64 v[8:9], v[8:9], v[133:134]
	v_add_f64 v[28:29], v[28:29], v[30:31]
	;; [unrolled: 1-line block ×6, first 2 shown]
	v_fma_f64 v[8:9], v[8:9], -0.5, v[46:47]
	v_fma_f64 v[18:19], v[16:17], s[4:5], v[8:9]
	v_fma_f64 v[8:9], v[16:17], s[8:9], v[8:9]
	;; [unrolled: 1-line block ×6, first 2 shown]
	v_add_f64 v[8:9], v[131:132], v[141:142]
	v_fma_f64 v[8:9], v[8:9], -0.5, v[46:47]
	v_fma_f64 v[22:23], v[20:21], s[8:9], v[8:9]
	v_fma_f64 v[8:9], v[20:21], s[4:5], v[8:9]
	;; [unrolled: 1-line block ×6, first 2 shown]
	v_mul_f64 v[8:9], v[18:19], s[14:15]
	v_mul_f64 v[18:19], v[18:19], s[20:21]
	v_fma_f64 v[118:119], v[36:37], s[20:21], v[8:9]
	v_mul_f64 v[8:9], v[22:23], s[8:9]
	v_fma_f64 v[135:136], v[36:37], s[2:3], v[18:19]
	v_mul_f64 v[18:19], v[22:23], s[6:7]
	v_add_f64 v[36:37], v[4:5], -v[12:13]
	v_add_f64 v[28:29], v[24:25], v[118:119]
	v_fma_f64 v[128:129], v[108:109], s[6:7], v[8:9]
	v_mul_f64 v[8:9], v[46:47], s[8:9]
	v_fma_f64 v[108:109], v[108:109], s[4:5], v[18:19]
	v_mul_f64 v[18:19], v[46:47], s[16:17]
	v_add_f64 v[30:31], v[44:45], v[135:136]
	v_add_f64 v[24:25], v[24:25], -v[118:119]
	v_add_f64 v[20:21], v[26:27], v[128:129]
	v_fma_f64 v[131:132], v[10:11], s[16:17], v[8:9]
	v_mul_f64 v[8:9], v[116:117], s[14:15]
	v_fma_f64 v[46:47], v[10:11], s[4:5], v[18:19]
	v_mul_f64 v[10:11], v[116:117], s[18:19]
	v_add_f64 v[22:23], v[102:103], v[108:109]
	v_add_f64 v[12:13], v[26:27], -v[128:129]
	v_add_f64 v[26:27], v[44:45], -v[135:136]
	v_add_f64 v[16:17], v[0:1], v[131:132]
	v_fma_f64 v[133:134], v[38:39], s[18:19], v[8:9]
	v_add_f64 v[18:19], v[2:3], v[46:47]
	v_fma_f64 v[116:117], v[38:39], s[2:3], v[10:11]
	v_add_f64 v[4:5], v[0:1], -v[131:132]
	v_add_f64 v[38:39], v[14:15], -v[110:111]
	;; [unrolled: 1-line block ×3, first 2 shown]
	v_add_f64 v[8:9], v[6:7], v[133:134]
	v_add_f64 v[0:1], v[6:7], -v[133:134]
	v_add_f64 v[10:11], v[100:101], v[116:117]
	v_add_f64 v[6:7], v[2:3], -v[46:47]
	v_add_f64 v[2:3], v[100:101], -v[116:117]
	ds_write_b128 v156, v[120:123]
	ds_write_b128 v156, v[112:115] offset:480
	ds_write_b128 v156, v[104:107] offset:960
	ds_write_b128 v156, v[124:127] offset:1440
	ds_write_b128 v156, v[40:43] offset:1920
	ds_write_b128 v156, v[64:67] offset:2400
	ds_write_b128 v156, v[60:63] offset:2880
	ds_write_b128 v156, v[56:59] offset:3360
	ds_write_b128 v156, v[52:55] offset:3840
	ds_write_b128 v156, v[48:51] offset:4320
	ds_write_b128 v155, v[176:179]
	ds_write_b128 v155, v[96:99] offset:480
	ds_write_b128 v155, v[88:91] offset:960
	ds_write_b128 v155, v[84:87] offset:1440
	ds_write_b128 v155, v[76:79] offset:1920
	ds_write_b128 v155, v[184:187] offset:2400
	ds_write_b128 v155, v[92:95] offset:2880
	ds_write_b128 v155, v[80:83] offset:3360
	ds_write_b128 v155, v[72:75] offset:3840
	ds_write_b128 v155, v[68:71] offset:4320
	;; [unrolled: 10-line block ×3, first 2 shown]
	s_waitcnt lgkmcnt(0)
	s_barrier
	buffer_gl0_inv
	ds_read_b128 v[4:7], v130
	ds_read_b128 v[16:19], v130 offset:4800
	ds_read_b128 v[20:23], v130 offset:9600
	;; [unrolled: 1-line block ×29, first 2 shown]
	s_clause 0x3
	buffer_load_dword v64, off, s[28:31], 0 offset:1116
	buffer_load_dword v65, off, s[28:31], 0 offset:1120
	buffer_load_dword v66, off, s[28:31], 0 offset:1124
	buffer_load_dword v67, off, s[28:31], 0 offset:1128
	s_waitcnt vmcnt(0) lgkmcnt(28)
	v_mul_f64 v[32:33], v[66:67], v[18:19]
	v_fma_f64 v[40:41], v[64:65], v[16:17], v[32:33]
	v_mul_f64 v[16:17], v[66:67], v[16:17]
	v_fma_f64 v[16:17], v[64:65], v[18:19], -v[16:17]
	s_clause 0x3
	buffer_load_dword v64, off, s[28:31], 0 offset:1164
	buffer_load_dword v65, off, s[28:31], 0 offset:1168
	buffer_load_dword v66, off, s[28:31], 0 offset:1172
	buffer_load_dword v67, off, s[28:31], 0 offset:1176
	s_waitcnt vmcnt(0) lgkmcnt(27)
	v_mul_f64 v[18:19], v[66:67], v[22:23]
	v_fma_f64 v[42:43], v[64:65], v[20:21], v[18:19]
	v_mul_f64 v[18:19], v[66:67], v[20:21]
	v_fma_f64 v[139:140], v[64:65], v[22:23], -v[18:19]
	;; [unrolled: 10-line block ×4, first 2 shown]
	s_clause 0x3
	buffer_load_dword v24, off, s[28:31], 0 offset:1228
	buffer_load_dword v25, off, s[28:31], 0 offset:1232
	;; [unrolled: 1-line block ×4, first 2 shown]
	s_waitcnt vmcnt(0) lgkmcnt(24)
	v_mul_f64 v[20:21], v[26:27], v[36:37]
	v_fma_f64 v[32:33], v[24:25], v[34:35], v[20:21]
	v_mul_f64 v[20:21], v[26:27], v[34:35]
	s_clause 0x3
	buffer_load_dword v26, off, s[28:31], 0 offset:1180
	buffer_load_dword v27, off, s[28:31], 0 offset:1184
	;; [unrolled: 1-line block ×4, first 2 shown]
	v_fma_f64 v[20:21], v[24:25], v[36:37], -v[20:21]
	s_waitcnt vmcnt(0) lgkmcnt(23)
	v_mul_f64 v[24:25], v[28:29], v[50:51]
	v_fma_f64 v[145:146], v[26:27], v[48:49], v[24:25]
	v_mul_f64 v[24:25], v[28:29], v[48:49]
	v_fma_f64 v[147:148], v[26:27], v[50:51], -v[24:25]
	s_clause 0x7
	buffer_load_dword v26, off, s[28:31], 0 offset:1068
	buffer_load_dword v27, off, s[28:31], 0 offset:1072
	;; [unrolled: 1-line block ×8, first 2 shown]
	s_waitcnt vmcnt(4) lgkmcnt(22)
	v_mul_f64 v[24:25], v[28:29], v[54:55]
	v_fma_f64 v[36:37], v[26:27], v[52:53], v[24:25]
	v_mul_f64 v[24:25], v[28:29], v[52:53]
	v_fma_f64 v[28:29], v[26:27], v[54:55], -v[24:25]
	s_waitcnt vmcnt(0) lgkmcnt(21)
	v_mul_f64 v[24:25], v[50:51], v[58:59]
	v_add_f64 v[26:27], v[42:43], -v[141:142]
	v_fma_f64 v[149:150], v[48:49], v[56:57], v[24:25]
	v_mul_f64 v[24:25], v[50:51], v[56:57]
	v_add_f64 v[30:31], v[149:150], -v[145:146]
	v_fma_f64 v[151:152], v[48:49], v[58:59], -v[24:25]
	s_clause 0x3
	buffer_load_dword v48, off, s[28:31], 0 offset:1260
	buffer_load_dword v49, off, s[28:31], 0 offset:1264
	;; [unrolled: 1-line block ×4, first 2 shown]
	v_add_f64 v[30:31], v[26:27], v[30:31]
	s_waitcnt vmcnt(0) lgkmcnt(20)
	v_mul_f64 v[24:25], v[50:51], v[62:63]
	v_fma_f64 v[38:39], v[48:49], v[60:61], v[24:25]
	v_mul_f64 v[24:25], v[50:51], v[60:61]
	s_clause 0x7
	buffer_load_dword v50, off, s[28:31], 0 offset:1356
	buffer_load_dword v51, off, s[28:31], 0 offset:1360
	;; [unrolled: 1-line block ×8, first 2 shown]
	v_fma_f64 v[34:35], v[48:49], v[62:63], -v[24:25]
	s_waitcnt lgkmcnt(18)
	v_mul_f64 v[24:25], v[246:247], v[70:71]
	v_fma_f64 v[66:67], v[244:245], v[68:69], v[24:25]
	v_mul_f64 v[24:25], v[246:247], v[68:69]
	v_fma_f64 v[48:49], v[244:245], v[70:71], -v[24:25]
	s_waitcnt lgkmcnt(17)
	v_mul_f64 v[24:25], v[242:243], v[74:75]
	v_fma_f64 v[76:77], v[240:241], v[72:73], v[24:25]
	v_mul_f64 v[24:25], v[242:243], v[72:73]
	v_fma_f64 v[68:69], v[240:241], v[74:75], -v[24:25]
	s_waitcnt vmcnt(4) lgkmcnt(16)
	v_mul_f64 v[24:25], v[52:53], v[80:81]
	v_fma_f64 v[54:55], v[50:51], v[78:79], v[24:25]
	v_mul_f64 v[24:25], v[52:53], v[78:79]
	v_fma_f64 v[50:51], v[50:51], v[80:81], -v[24:25]
	s_waitcnt vmcnt(0) lgkmcnt(15)
	v_mul_f64 v[24:25], v[58:59], v[84:85]
	v_fma_f64 v[78:79], v[56:57], v[82:83], v[24:25]
	v_mul_f64 v[24:25], v[58:59], v[82:83]
	v_fma_f64 v[70:71], v[56:57], v[84:85], -v[24:25]
	s_waitcnt lgkmcnt(14)
	v_mul_f64 v[24:25], v[226:227], v[88:89]
	v_fma_f64 v[58:59], v[224:225], v[86:87], v[24:25]
	v_mul_f64 v[24:25], v[226:227], v[86:87]
	v_fma_f64 v[52:53], v[224:225], v[88:89], -v[24:25]
	s_waitcnt lgkmcnt(13)
	;; [unrolled: 5-line block ×9, first 2 shown]
	v_mul_f64 v[24:25], v[218:219], v[124:125]
	v_add_f64 v[120:121], v[145:146], -v[149:150]
	v_fma_f64 v[114:115], v[216:217], v[122:123], v[24:25]
	v_mul_f64 v[24:25], v[218:219], v[122:123]
	v_fma_f64 v[106:107], v[216:217], v[124:125], -v[24:25]
	s_waitcnt lgkmcnt(4)
	v_mul_f64 v[24:25], v[190:191], v[128:129]
	v_fma_f64 v[94:95], v[188:189], v[126:127], v[24:25]
	v_mul_f64 v[24:25], v[190:191], v[126:127]
	v_fma_f64 v[88:89], v[188:189], v[128:129], -v[24:25]
	s_waitcnt lgkmcnt(3)
	v_mul_f64 v[24:25], v[194:195], v[133:134]
	;; [unrolled: 5-line block ×5, first 2 shown]
	v_add_f64 v[14:15], v[143:144], -v[147:148]
	v_fma_f64 v[100:101], v[180:181], v[8:9], v[12:13]
	v_mul_f64 v[8:9], v[182:183], v[8:9]
	v_fma_f64 v[96:97], v[180:181], v[10:11], -v[8:9]
	v_add_f64 v[8:9], v[4:5], v[42:43]
	v_add_f64 v[10:11], v[139:140], -v[151:152]
	v_add_f64 v[8:9], v[8:9], v[141:142]
	v_add_f64 v[8:9], v[8:9], v[145:146]
	;; [unrolled: 1-line block ×4, first 2 shown]
	v_fma_f64 v[8:9], v[8:9], -0.5, v[4:5]
	v_fma_f64 v[12:13], v[10:11], s[8:9], v[8:9]
	v_fma_f64 v[8:9], v[10:11], s[4:5], v[8:9]
	;; [unrolled: 1-line block ×6, first 2 shown]
	v_add_f64 v[8:9], v[42:43], v[149:150]
	v_add_f64 v[12:13], v[141:142], -v[42:43]
	v_fma_f64 v[4:5], v[8:9], -0.5, v[4:5]
	v_add_f64 v[12:13], v[12:13], v[120:121]
	v_fma_f64 v[8:9], v[14:15], s[4:5], v[4:5]
	v_fma_f64 v[4:5], v[14:15], s[8:9], v[4:5]
	v_add_f64 v[14:15], v[139:140], -v[143:144]
	v_fma_f64 v[8:9], v[10:11], s[14:15], v[8:9]
	v_fma_f64 v[4:5], v[10:11], s[2:3], v[4:5]
	;; [unrolled: 1-line block ×4, first 2 shown]
	v_add_f64 v[4:5], v[6:7], v[139:140]
	v_add_f64 v[8:9], v[42:43], -v[149:150]
	v_add_f64 v[12:13], v[141:142], -v[145:146]
	;; [unrolled: 1-line block ×3, first 2 shown]
	v_add_f64 v[4:5], v[4:5], v[143:144]
	v_add_f64 v[14:15], v[14:15], v[42:43]
	;; [unrolled: 1-line block ×5, first 2 shown]
	v_fma_f64 v[4:5], v[4:5], -0.5, v[6:7]
	v_fma_f64 v[10:11], v[8:9], s[4:5], v[4:5]
	v_fma_f64 v[4:5], v[8:9], s[8:9], v[4:5]
	v_fma_f64 v[10:11], v[12:13], s[2:3], v[10:11]
	v_fma_f64 v[4:5], v[12:13], s[14:15], v[4:5]
	v_fma_f64 v[126:127], v[14:15], s[6:7], v[10:11]
	v_fma_f64 v[128:129], v[14:15], s[6:7], v[4:5]
	v_add_f64 v[4:5], v[139:140], v[151:152]
	v_add_f64 v[10:11], v[143:144], -v[139:140]
	v_add_f64 v[14:15], v[147:148], -v[151:152]
	v_fma_f64 v[4:5], v[4:5], -0.5, v[6:7]
	v_add_f64 v[10:11], v[10:11], v[14:15]
	v_add_f64 v[14:15], v[38:39], -v[36:37]
	v_fma_f64 v[6:7], v[12:13], s[8:9], v[4:5]
	v_fma_f64 v[4:5], v[12:13], s[4:5], v[4:5]
	v_add_f64 v[12:13], v[22:23], -v[32:33]
	v_fma_f64 v[6:7], v[8:9], s[2:3], v[6:7]
	v_fma_f64 v[4:5], v[8:9], s[14:15], v[4:5]
	v_add_f64 v[12:13], v[12:13], v[14:15]
	v_fma_f64 v[131:132], v[10:11], s[6:7], v[6:7]
	v_fma_f64 v[133:134], v[10:11], s[6:7], v[4:5]
	v_add_f64 v[4:5], v[40:41], v[22:23]
	v_add_f64 v[6:7], v[18:19], -v[34:35]
	v_add_f64 v[10:11], v[20:21], -v[28:29]
	v_add_f64 v[4:5], v[4:5], v[32:33]
	v_add_f64 v[4:5], v[4:5], v[36:37]
	;; [unrolled: 1-line block ×4, first 2 shown]
	v_fma_f64 v[4:5], v[4:5], -0.5, v[40:41]
	v_fma_f64 v[8:9], v[6:7], s[8:9], v[4:5]
	v_fma_f64 v[4:5], v[6:7], s[4:5], v[4:5]
	v_fma_f64 v[8:9], v[10:11], s[14:15], v[8:9]
	v_fma_f64 v[4:5], v[10:11], s[2:3], v[4:5]
	v_fma_f64 v[14:15], v[12:13], s[6:7], v[8:9]
	v_fma_f64 v[135:136], v[12:13], s[6:7], v[4:5]
	v_add_f64 v[4:5], v[22:23], v[38:39]
	v_add_f64 v[12:13], v[32:33], -v[22:23]
	v_fma_f64 v[4:5], v[4:5], -0.5, v[40:41]
	v_add_f64 v[40:41], v[36:37], -v[38:39]
	v_fma_f64 v[8:9], v[10:11], s[4:5], v[4:5]
	v_fma_f64 v[4:5], v[10:11], s[8:9], v[4:5]
	v_add_f64 v[12:13], v[12:13], v[40:41]
	v_fma_f64 v[8:9], v[6:7], s[14:15], v[8:9]
	v_fma_f64 v[4:5], v[6:7], s[2:3], v[4:5]
	v_add_f64 v[6:7], v[22:23], -v[38:39]
	v_add_f64 v[22:23], v[18:19], -v[20:21]
	v_fma_f64 v[40:41], v[12:13], s[6:7], v[8:9]
	v_fma_f64 v[10:11], v[12:13], s[6:7], v[4:5]
	v_add_f64 v[4:5], v[16:17], v[18:19]
	v_add_f64 v[12:13], v[32:33], -v[36:37]
	v_add_f64 v[32:33], v[34:35], -v[28:29]
	v_add_f64 v[4:5], v[4:5], v[20:21]
	v_add_f64 v[22:23], v[22:23], v[32:33]
	;; [unrolled: 1-line block ×5, first 2 shown]
	v_fma_f64 v[4:5], v[4:5], -0.5, v[16:17]
	v_fma_f64 v[8:9], v[6:7], s[4:5], v[4:5]
	v_fma_f64 v[4:5], v[6:7], s[8:9], v[4:5]
	;; [unrolled: 1-line block ×6, first 2 shown]
	v_add_f64 v[4:5], v[18:19], v[34:35]
	v_mul_f64 v[22:23], v[32:33], s[20:21]
	v_fma_f64 v[4:5], v[4:5], -0.5, v[16:17]
	v_add_f64 v[16:17], v[20:21], -v[18:19]
	v_add_f64 v[18:19], v[28:29], -v[34:35]
	v_fma_f64 v[143:144], v[14:15], s[2:3], v[22:23]
	v_fma_f64 v[8:9], v[12:13], s[8:9], v[4:5]
	;; [unrolled: 1-line block ×3, first 2 shown]
	v_add_f64 v[16:17], v[16:17], v[18:19]
	v_add_f64 v[22:23], v[126:127], v[143:144]
	v_fma_f64 v[8:9], v[6:7], s[2:3], v[8:9]
	v_fma_f64 v[4:5], v[6:7], s[14:15], v[4:5]
	v_mul_f64 v[6:7], v[32:33], s[14:15]
	v_fma_f64 v[18:19], v[16:17], s[6:7], v[8:9]
	v_fma_f64 v[28:29], v[16:17], s[6:7], v[4:5]
	;; [unrolled: 1-line block ×3, first 2 shown]
	v_add_f64 v[4:5], v[24:25], v[42:43]
	v_mul_f64 v[6:7], v[18:19], s[8:9]
	v_mul_f64 v[14:15], v[18:19], s[6:7]
	v_add_f64 v[20:21], v[26:27], v[34:35]
	v_fma_f64 v[38:39], v[40:41], s[6:7], v[6:7]
	v_mul_f64 v[6:7], v[28:29], s[8:9]
	v_fma_f64 v[145:146], v[40:41], s[4:5], v[14:15]
	v_mul_f64 v[14:15], v[28:29], s[16:17]
	v_add_f64 v[40:41], v[24:25], -v[42:43]
	v_add_f64 v[42:43], v[124:125], -v[137:138]
	v_add_f64 v[16:17], v[120:121], v[38:39]
	v_fma_f64 v[139:140], v[10:11], s[16:17], v[6:7]
	v_mul_f64 v[6:7], v[36:37], s[14:15]
	v_fma_f64 v[147:148], v[10:11], s[4:5], v[14:15]
	v_mul_f64 v[10:11], v[36:37], s[18:19]
	v_add_f64 v[32:33], v[120:121], -v[38:39]
	v_add_f64 v[38:39], v[126:127], -v[143:144]
	;; [unrolled: 1-line block ×3, first 2 shown]
	v_add_f64 v[18:19], v[131:132], v[145:146]
	v_add_f64 v[36:37], v[26:27], -v[34:35]
	v_add_f64 v[34:35], v[131:132], -v[145:146]
	;; [unrolled: 1-line block ×3, first 2 shown]
	v_add_f64 v[120:121], v[44:45], v[76:77]
	v_add_f64 v[12:13], v[122:123], v[139:140]
	v_add_f64 v[28:29], v[122:123], -v[139:140]
	v_add_f64 v[122:123], v[78:79], v[80:81]
	v_fma_f64 v[141:142], v[135:136], s[18:19], v[6:7]
	v_add_f64 v[6:7], v[124:125], v[137:138]
	v_fma_f64 v[135:136], v[135:136], s[2:3], v[10:11]
	v_add_f64 v[14:15], v[133:134], v[147:148]
	v_add_f64 v[120:121], v[120:121], v[78:79]
	v_fma_f64 v[124:125], v[122:123], -0.5, v[44:45]
	v_add_f64 v[8:9], v[30:31], v[141:142]
	v_add_f64 v[24:25], v[30:31], -v[141:142]
	v_add_f64 v[10:11], v[128:129], v[135:136]
	v_add_f64 v[30:31], v[133:134], -v[147:148]
	v_add_f64 v[26:27], v[128:129], -v[135:136]
	;; [unrolled: 1-line block ×5, first 2 shown]
	v_add_f64 v[120:121], v[120:121], v[80:81]
	v_fma_f64 v[122:123], v[126:127], s[8:9], v[124:125]
	v_fma_f64 v[124:125], v[126:127], s[4:5], v[124:125]
	v_add_f64 v[131:132], v[131:132], v[133:134]
	v_add_f64 v[133:134], v[78:79], -v[76:77]
	v_add_f64 v[120:121], v[120:121], v[82:83]
	v_add_f64 v[78:79], v[78:79], -v[80:81]
	v_fma_f64 v[122:123], v[128:129], s[14:15], v[122:123]
	v_fma_f64 v[124:125], v[128:129], s[2:3], v[124:125]
	v_add_f64 v[133:134], v[133:134], v[135:136]
	v_fma_f64 v[122:123], v[131:132], s[6:7], v[122:123]
	v_fma_f64 v[124:125], v[131:132], s[6:7], v[124:125]
	v_add_f64 v[131:132], v[76:77], v[82:83]
	v_add_f64 v[76:77], v[76:77], -v[82:83]
	v_fma_f64 v[44:45], v[131:132], -0.5, v[44:45]
	v_fma_f64 v[131:132], v[128:129], s[4:5], v[44:45]
	v_fma_f64 v[44:45], v[128:129], s[8:9], v[44:45]
	;; [unrolled: 1-line block ×6, first 2 shown]
	v_add_f64 v[44:45], v[46:47], v[68:69]
	v_add_f64 v[133:134], v[74:75], -v[72:73]
	v_add_f64 v[44:45], v[44:45], v[70:71]
	v_add_f64 v[44:45], v[44:45], v[72:73]
	;; [unrolled: 1-line block ×4, first 2 shown]
	v_fma_f64 v[44:45], v[44:45], -0.5, v[46:47]
	v_fma_f64 v[82:83], v[76:77], s[4:5], v[44:45]
	v_fma_f64 v[44:45], v[76:77], s[8:9], v[44:45]
	;; [unrolled: 1-line block ×3, first 2 shown]
	v_add_f64 v[82:83], v[68:69], -v[70:71]
	v_fma_f64 v[44:45], v[78:79], s[14:15], v[44:45]
	v_add_f64 v[82:83], v[82:83], v[133:134]
	v_fma_f64 v[135:136], v[82:83], s[6:7], v[44:45]
	v_add_f64 v[44:45], v[68:69], v[74:75]
	v_add_f64 v[68:69], v[70:71], -v[68:69]
	v_add_f64 v[70:71], v[72:73], -v[74:75]
	;; [unrolled: 1-line block ×3, first 2 shown]
	v_fma_f64 v[133:134], v[82:83], s[6:7], v[80:81]
	v_add_f64 v[80:81], v[62:63], -v[64:65]
	v_fma_f64 v[44:45], v[44:45], -0.5, v[46:47]
	v_add_f64 v[68:69], v[68:69], v[70:71]
	v_fma_f64 v[46:47], v[78:79], s[8:9], v[44:45]
	v_fma_f64 v[44:45], v[78:79], s[4:5], v[44:45]
	v_add_f64 v[78:79], v[64:65], -v[62:63]
	v_fma_f64 v[46:47], v[76:77], s[2:3], v[46:47]
	v_fma_f64 v[44:45], v[76:77], s[14:15], v[44:45]
	v_add_f64 v[76:77], v[54:55], -v[58:59]
	v_fma_f64 v[70:71], v[68:69], s[6:7], v[46:47]
	v_fma_f64 v[137:138], v[68:69], s[6:7], v[44:45]
	v_add_f64 v[44:45], v[66:67], v[54:55]
	v_add_f64 v[46:47], v[50:51], -v[60:61]
	v_add_f64 v[76:77], v[76:77], v[78:79]
	v_add_f64 v[78:79], v[58:59], -v[54:55]
	v_add_f64 v[44:45], v[44:45], v[58:59]
	v_add_f64 v[78:79], v[78:79], v[80:81]
	;; [unrolled: 1-line block ×5, first 2 shown]
	v_add_f64 v[58:59], v[58:59], -v[62:63]
	v_add_f64 v[62:63], v[50:51], -v[52:53]
	v_fma_f64 v[44:45], v[44:45], -0.5, v[66:67]
	v_fma_f64 v[72:73], v[46:47], s[8:9], v[44:45]
	v_fma_f64 v[44:45], v[46:47], s[4:5], v[44:45]
	;; [unrolled: 1-line block ×6, first 2 shown]
	v_add_f64 v[44:45], v[54:55], v[64:65]
	v_fma_f64 v[44:45], v[44:45], -0.5, v[66:67]
	v_fma_f64 v[66:67], v[74:75], s[4:5], v[44:45]
	v_fma_f64 v[44:45], v[74:75], s[8:9], v[44:45]
	;; [unrolled: 1-line block ×4, first 2 shown]
	v_add_f64 v[46:47], v[54:55], -v[64:65]
	v_add_f64 v[64:65], v[60:61], -v[56:57]
	v_fma_f64 v[66:67], v[78:79], s[6:7], v[66:67]
	v_fma_f64 v[74:75], v[78:79], s[6:7], v[44:45]
	v_add_f64 v[44:45], v[48:49], v[50:51]
	v_add_f64 v[62:63], v[62:63], v[64:65]
	;; [unrolled: 1-line block ×6, first 2 shown]
	v_fma_f64 v[44:45], v[44:45], -0.5, v[48:49]
	v_fma_f64 v[54:55], v[46:47], s[4:5], v[44:45]
	v_fma_f64 v[44:45], v[46:47], s[8:9], v[44:45]
	;; [unrolled: 1-line block ×6, first 2 shown]
	v_add_f64 v[44:45], v[50:51], v[60:61]
	v_add_f64 v[50:51], v[52:53], -v[50:51]
	v_add_f64 v[52:53], v[56:57], -v[60:61]
	v_fma_f64 v[44:45], v[44:45], -0.5, v[48:49]
	v_add_f64 v[50:51], v[50:51], v[52:53]
	v_fma_f64 v[48:49], v[58:59], s[8:9], v[44:45]
	v_fma_f64 v[44:45], v[58:59], s[4:5], v[44:45]
	;; [unrolled: 1-line block ×4, first 2 shown]
	v_mul_f64 v[46:47], v[54:55], s[14:15]
	v_mul_f64 v[54:55], v[54:55], s[20:21]
	v_fma_f64 v[80:81], v[50:51], s[6:7], v[48:49]
	v_fma_f64 v[50:51], v[50:51], s[6:7], v[44:45]
	;; [unrolled: 1-line block ×3, first 2 shown]
	v_add_f64 v[44:45], v[120:121], v[68:69]
	v_fma_f64 v[145:146], v[72:73], s[2:3], v[54:55]
	v_mul_f64 v[46:47], v[80:81], s[8:9]
	v_mul_f64 v[54:55], v[80:81], s[6:7]
	v_add_f64 v[60:61], v[122:123], v[82:83]
	v_add_f64 v[80:81], v[120:121], -v[68:69]
	v_add_f64 v[62:63], v[133:134], v[145:146]
	v_add_f64 v[120:121], v[0:1], v[112:113]
	v_fma_f64 v[139:140], v[66:67], s[6:7], v[46:47]
	v_mul_f64 v[46:47], v[50:51], s[8:9]
	v_mul_f64 v[50:51], v[50:51], s[16:17]
	v_fma_f64 v[66:67], v[66:67], s[4:5], v[54:55]
	v_add_f64 v[120:121], v[120:121], v[114:115]
	v_add_f64 v[56:57], v[131:132], v[139:140]
	v_fma_f64 v[141:142], v[74:75], s[16:17], v[46:47]
	v_mul_f64 v[46:47], v[64:65], s[14:15]
	v_fma_f64 v[147:148], v[74:75], s[4:5], v[50:51]
	v_mul_f64 v[50:51], v[64:65], s[18:19]
	v_add_f64 v[72:73], v[131:132], -v[139:140]
	v_add_f64 v[131:132], v[106:107], -v[108:109]
	v_add_f64 v[58:59], v[70:71], v[66:67]
	v_add_f64 v[74:75], v[70:71], -v[66:67]
	v_add_f64 v[120:121], v[120:121], v[116:117]
	v_add_f64 v[52:53], v[126:127], v[141:142]
	v_fma_f64 v[143:144], v[76:77], s[18:19], v[46:47]
	v_add_f64 v[68:69], v[126:127], -v[141:142]
	v_fma_f64 v[149:150], v[76:77], s[2:3], v[50:51]
	v_add_f64 v[76:77], v[122:123], -v[82:83]
	v_add_f64 v[122:123], v[114:115], v[116:117]
	v_add_f64 v[126:127], v[104:105], -v[110:111]
	v_add_f64 v[46:47], v[128:129], v[78:79]
	v_add_f64 v[82:83], v[128:129], -v[78:79]
	v_add_f64 v[78:79], v[133:134], -v[145:146]
	v_add_f64 v[128:129], v[112:113], -v[114:115]
	v_add_f64 v[133:134], v[118:119], -v[116:117]
	v_add_f64 v[120:121], v[120:121], v[118:119]
	v_add_f64 v[54:55], v[137:138], v[147:148]
	v_add_f64 v[70:71], v[137:138], -v[147:148]
	v_add_f64 v[48:49], v[124:125], v[143:144]
	v_add_f64 v[64:65], v[124:125], -v[143:144]
	v_add_f64 v[50:51], v[135:136], v[149:150]
	v_add_f64 v[66:67], v[135:136], -v[149:150]
	v_fma_f64 v[124:125], v[122:123], -0.5, v[0:1]
	v_add_f64 v[135:136], v[116:117], -v[118:119]
	v_add_f64 v[116:117], v[114:115], -v[116:117]
	v_add_f64 v[128:129], v[128:129], v[133:134]
	v_add_f64 v[133:134], v[114:115], -v[112:113]
	v_add_f64 v[114:115], v[104:105], -v[106:107]
	v_fma_f64 v[122:123], v[126:127], s[8:9], v[124:125]
	v_fma_f64 v[124:125], v[126:127], s[4:5], v[124:125]
	v_add_f64 v[133:134], v[133:134], v[135:136]
	v_add_f64 v[135:136], v[98:99], -v[100:101]
	v_fma_f64 v[122:123], v[131:132], s[14:15], v[122:123]
	v_fma_f64 v[124:125], v[131:132], s[2:3], v[124:125]
	;; [unrolled: 1-line block ×4, first 2 shown]
	v_add_f64 v[128:129], v[112:113], v[118:119]
	v_add_f64 v[118:119], v[112:113], -v[118:119]
	v_fma_f64 v[0:1], v[128:129], -0.5, v[0:1]
	v_fma_f64 v[128:129], v[131:132], s[4:5], v[0:1]
	v_fma_f64 v[0:1], v[131:132], s[8:9], v[0:1]
	;; [unrolled: 1-line block ×6, first 2 shown]
	v_add_f64 v[0:1], v[2:3], v[104:105]
	v_add_f64 v[133:134], v[110:111], -v[108:109]
	v_add_f64 v[0:1], v[0:1], v[106:107]
	v_add_f64 v[133:134], v[114:115], v[133:134]
	;; [unrolled: 1-line block ×5, first 2 shown]
	v_fma_f64 v[0:1], v[0:1], -0.5, v[2:3]
	v_fma_f64 v[112:113], v[118:119], s[4:5], v[0:1]
	v_fma_f64 v[0:1], v[118:119], s[8:9], v[0:1]
	;; [unrolled: 1-line block ×6, first 2 shown]
	v_add_f64 v[0:1], v[104:105], v[110:111]
	v_add_f64 v[104:105], v[106:107], -v[104:105]
	v_add_f64 v[106:107], v[108:109], -v[110:111]
	v_add_f64 v[133:134], v[100:101], -v[98:99]
	v_fma_f64 v[0:1], v[0:1], -0.5, v[2:3]
	v_add_f64 v[104:105], v[104:105], v[106:107]
	v_fma_f64 v[2:3], v[116:117], s[8:9], v[0:1]
	v_fma_f64 v[0:1], v[116:117], s[4:5], v[0:1]
	v_add_f64 v[116:117], v[88:89], -v[92:93]
	v_fma_f64 v[2:3], v[118:119], s[2:3], v[2:3]
	v_fma_f64 v[0:1], v[118:119], s[14:15], v[0:1]
	v_add_f64 v[118:119], v[90:91], -v[94:95]
	v_fma_f64 v[106:107], v[104:105], s[6:7], v[2:3]
	v_fma_f64 v[104:105], v[104:105], s[6:7], v[0:1]
	v_add_f64 v[0:1], v[102:103], v[90:91]
	v_add_f64 v[2:3], v[86:87], -v[96:97]
	v_add_f64 v[118:119], v[118:119], v[133:134]
	v_add_f64 v[133:134], v[94:95], -v[90:91]
	v_add_f64 v[0:1], v[0:1], v[94:95]
	v_add_f64 v[133:134], v[133:134], v[135:136]
	;; [unrolled: 1-line block ×5, first 2 shown]
	v_add_f64 v[94:95], v[94:95], -v[98:99]
	v_add_f64 v[98:99], v[86:87], -v[88:89]
	v_fma_f64 v[0:1], v[0:1], -0.5, v[102:103]
	v_fma_f64 v[110:111], v[2:3], s[8:9], v[0:1]
	v_fma_f64 v[0:1], v[2:3], s[4:5], v[0:1]
	;; [unrolled: 1-line block ×6, first 2 shown]
	v_add_f64 v[0:1], v[90:91], v[100:101]
	v_fma_f64 v[0:1], v[0:1], -0.5, v[102:103]
	v_fma_f64 v[102:103], v[116:117], s[4:5], v[0:1]
	v_fma_f64 v[0:1], v[116:117], s[8:9], v[0:1]
	;; [unrolled: 1-line block ×4, first 2 shown]
	v_add_f64 v[2:3], v[90:91], -v[100:101]
	v_add_f64 v[100:101], v[96:97], -v[92:93]
	v_fma_f64 v[102:103], v[133:134], s[6:7], v[102:103]
	v_fma_f64 v[116:117], v[133:134], s[6:7], v[0:1]
	v_add_f64 v[0:1], v[84:85], v[86:87]
	v_add_f64 v[98:99], v[98:99], v[100:101]
	;; [unrolled: 1-line block ×6, first 2 shown]
	v_fma_f64 v[0:1], v[0:1], -0.5, v[84:85]
	v_fma_f64 v[90:91], v[2:3], s[4:5], v[0:1]
	v_fma_f64 v[0:1], v[2:3], s[8:9], v[0:1]
	;; [unrolled: 1-line block ×6, first 2 shown]
	v_add_f64 v[0:1], v[86:87], v[96:97]
	v_add_f64 v[86:87], v[88:89], -v[86:87]
	v_add_f64 v[88:89], v[92:93], -v[96:97]
	v_fma_f64 v[0:1], v[0:1], -0.5, v[84:85]
	v_add_f64 v[86:87], v[86:87], v[88:89]
	v_fma_f64 v[84:85], v[94:95], s[8:9], v[0:1]
	v_fma_f64 v[0:1], v[94:95], s[4:5], v[0:1]
	;; [unrolled: 1-line block ×4, first 2 shown]
	v_mul_f64 v[2:3], v[90:91], s[14:15]
	v_fma_f64 v[100:101], v[86:87], s[6:7], v[84:85]
	v_fma_f64 v[94:95], v[86:87], s[6:7], v[0:1]
	;; [unrolled: 1-line block ×3, first 2 shown]
	v_mul_f64 v[86:87], v[90:91], s[20:21]
	v_add_f64 v[0:1], v[120:121], v[108:109]
	v_mul_f64 v[2:3], v[100:101], s[8:9]
	v_mul_f64 v[90:91], v[100:101], s[6:7]
	v_add_f64 v[84:85], v[122:123], v[135:136]
	v_fma_f64 v[110:111], v[110:111], s[2:3], v[86:87]
	v_add_f64 v[100:101], v[120:121], -v[108:109]
	v_add_f64 v[108:109], v[122:123], -v[135:136]
	v_fma_f64 v[137:138], v[102:103], s[6:7], v[2:3]
	v_mul_f64 v[2:3], v[94:95], s[8:9]
	v_mul_f64 v[94:95], v[94:95], s[16:17]
	v_fma_f64 v[143:144], v[102:103], s[4:5], v[90:91]
	v_add_f64 v[86:87], v[114:115], v[110:111]
	v_add_f64 v[102:103], v[126:127], -v[133:134]
	v_add_f64 v[110:111], v[114:115], -v[110:111]
	v_add_f64 v[88:89], v[128:129], v[137:138]
	v_fma_f64 v[139:140], v[116:117], s[16:17], v[2:3]
	v_mul_f64 v[2:3], v[98:99], s[14:15]
	v_mul_f64 v[98:99], v[98:99], s[18:19]
	v_fma_f64 v[145:146], v[116:117], s[4:5], v[94:95]
	v_add_f64 v[90:91], v[106:107], v[143:144]
	v_add_f64 v[116:117], v[128:129], -v[137:138]
	s_mul_i32 s4, s1, 0x12c0
	s_mul_hi_u32 s5, s0, 0x12c0
	s_add_i32 s4, s5, s4
	s_mul_i32 s5, s0, 0x12c0
	v_add_f64 v[92:93], v[131:132], v[139:140]
	v_fma_f64 v[141:142], v[118:119], s[18:19], v[2:3]
	v_fma_f64 v[147:148], v[118:119], s[2:3], v[98:99]
	v_add_f64 v[2:3], v[126:127], v[133:134]
	v_add_f64 v[94:95], v[104:105], v[145:146]
	v_add_f64 v[120:121], v[131:132], -v[139:140]
	v_add_f64 v[118:119], v[106:107], -v[143:144]
	;; [unrolled: 1-line block ×3, first 2 shown]
	s_mov_b32 s2, 0xc3ece2a5
	s_mov_b32 s3, 0x3f35d867
	v_add_f64 v[96:97], v[124:125], v[141:142]
	v_add_f64 v[98:99], v[112:113], v[147:148]
	v_add_f64 v[124:125], v[124:125], -v[141:142]
	v_add_f64 v[126:127], v[112:113], -v[147:148]
	ds_write_b128 v130, v[4:7]
	ds_write_b128 v130, v[20:23] offset:4800
	ds_write_b128 v130, v[16:19] offset:9600
	;; [unrolled: 1-line block ×29, first 2 shown]
	s_waitcnt lgkmcnt(0)
	s_barrier
	buffer_gl0_inv
	ds_read_b128 v[0:3], v130
	s_clause 0x3
	buffer_load_dword v6, off, s[28:31], 0 offset:8
	buffer_load_dword v7, off, s[28:31], 0 offset:12
	buffer_load_dword v8, off, s[28:31], 0 offset:16
	buffer_load_dword v9, off, s[28:31], 0 offset:20
	s_waitcnt vmcnt(0) lgkmcnt(0)
	v_mul_f64 v[4:5], v[8:9], v[2:3]
	v_fma_f64 v[4:5], v[6:7], v[0:1], v[4:5]
	v_mul_f64 v[0:1], v[8:9], v[0:1]
	v_mul_f64 v[4:5], v[4:5], s[2:3]
	v_fma_f64 v[0:1], v[6:7], v[2:3], -v[0:1]
	buffer_load_dword v2, off, s[28:31], 0 offset:488 ; 4-byte Folded Reload
	v_mul_f64 v[6:7], v[0:1], s[2:3]
	s_waitcnt vmcnt(0)
	v_mad_u64_u32 v[0:1], null, s0, v2, 0
	v_mad_u64_u32 v[1:2], null, s1, v2, v[1:2]
	s_clause 0x1
	buffer_load_dword v2, off, s[28:31], 0
	buffer_load_dword v3, off, s[28:31], 0 offset:4
	s_mul_i32 s1, s1, 0xffff5d80
	s_sub_i32 s1, s1, s0
	v_lshlrev_b64 v[0:1], 4, v[0:1]
	s_waitcnt vmcnt(0)
	v_lshlrev_b64 v[2:3], 4, v[2:3]
	v_add_co_u32 v2, vcc_lo, s12, v2
	v_add_co_ci_u32_e32 v3, vcc_lo, s13, v3, vcc_lo
	v_add_co_u32 v8, vcc_lo, v2, v0
	v_add_co_ci_u32_e32 v9, vcc_lo, v3, v1, vcc_lo
	ds_read_b128 v[0:3], v130 offset:4800
	global_store_dwordx4 v[8:9], v[4:7], off
	s_clause 0x3
	buffer_load_dword v10, off, s[28:31], 0 offset:40
	buffer_load_dword v11, off, s[28:31], 0 offset:44
	buffer_load_dword v12, off, s[28:31], 0 offset:48
	buffer_load_dword v13, off, s[28:31], 0 offset:52
	v_add_co_u32 v8, vcc_lo, v8, s5
	v_add_co_ci_u32_e32 v9, vcc_lo, s4, v9, vcc_lo
	s_waitcnt vmcnt(0) lgkmcnt(0)
	v_mul_f64 v[4:5], v[12:13], v[2:3]
	v_fma_f64 v[4:5], v[10:11], v[0:1], v[4:5]
	v_mul_f64 v[0:1], v[12:13], v[0:1]
	v_mul_f64 v[4:5], v[4:5], s[2:3]
	v_fma_f64 v[0:1], v[10:11], v[2:3], -v[0:1]
	v_mul_f64 v[6:7], v[0:1], s[2:3]
	ds_read_b128 v[0:3], v130 offset:9600
	global_store_dwordx4 v[8:9], v[4:7], off
	s_clause 0x3
	buffer_load_dword v10, off, s[28:31], 0 offset:56
	buffer_load_dword v11, off, s[28:31], 0 offset:60
	buffer_load_dword v12, off, s[28:31], 0 offset:64
	buffer_load_dword v13, off, s[28:31], 0 offset:68
	v_add_co_u32 v8, vcc_lo, v8, s5
	v_add_co_ci_u32_e32 v9, vcc_lo, s4, v9, vcc_lo
	s_waitcnt vmcnt(0) lgkmcnt(0)
	v_mul_f64 v[4:5], v[12:13], v[2:3]
	v_fma_f64 v[4:5], v[10:11], v[0:1], v[4:5]
	v_mul_f64 v[0:1], v[12:13], v[0:1]
	v_mul_f64 v[4:5], v[4:5], s[2:3]
	v_fma_f64 v[0:1], v[10:11], v[2:3], -v[0:1]
	v_mul_f64 v[6:7], v[0:1], s[2:3]
	;; [unrolled: 16-line block ×9, first 2 shown]
	ds_read_b128 v[0:3], v130 offset:1600
	global_store_dwordx4 v[8:9], v[4:7], off
	s_clause 0x3
	buffer_load_dword v10, off, s[28:31], 0 offset:184
	buffer_load_dword v11, off, s[28:31], 0 offset:188
	;; [unrolled: 1-line block ×4, first 2 shown]
	v_mad_u64_u32 v[8:9], null, 0xffff5d80, s0, v[8:9]
	v_add_nc_u32_e32 v9, s1, v9
	s_waitcnt vmcnt(0) lgkmcnt(0)
	v_mul_f64 v[4:5], v[12:13], v[2:3]
	v_fma_f64 v[4:5], v[10:11], v[0:1], v[4:5]
	v_mul_f64 v[0:1], v[12:13], v[0:1]
	v_mul_f64 v[4:5], v[4:5], s[2:3]
	v_fma_f64 v[0:1], v[10:11], v[2:3], -v[0:1]
	v_mul_f64 v[6:7], v[0:1], s[2:3]
	ds_read_b128 v[0:3], v130 offset:6400
	global_store_dwordx4 v[8:9], v[4:7], off
	s_clause 0x3
	buffer_load_dword v10, off, s[28:31], 0 offset:200
	buffer_load_dword v11, off, s[28:31], 0 offset:204
	buffer_load_dword v12, off, s[28:31], 0 offset:208
	buffer_load_dword v13, off, s[28:31], 0 offset:212
	v_add_co_u32 v8, vcc_lo, v8, s5
	v_add_co_ci_u32_e32 v9, vcc_lo, s4, v9, vcc_lo
	s_waitcnt vmcnt(0) lgkmcnt(0)
	v_mul_f64 v[4:5], v[12:13], v[2:3]
	v_fma_f64 v[4:5], v[10:11], v[0:1], v[4:5]
	v_mul_f64 v[0:1], v[12:13], v[0:1]
	v_mul_f64 v[4:5], v[4:5], s[2:3]
	v_fma_f64 v[0:1], v[10:11], v[2:3], -v[0:1]
	v_mul_f64 v[6:7], v[0:1], s[2:3]
	ds_read_b128 v[0:3], v130 offset:11200
	global_store_dwordx4 v[8:9], v[4:7], off
	s_clause 0x3
	buffer_load_dword v10, off, s[28:31], 0 offset:232
	buffer_load_dword v11, off, s[28:31], 0 offset:236
	buffer_load_dword v12, off, s[28:31], 0 offset:240
	buffer_load_dword v13, off, s[28:31], 0 offset:244
	v_add_co_u32 v8, vcc_lo, v8, s5
	v_add_co_ci_u32_e32 v9, vcc_lo, s4, v9, vcc_lo
	;; [unrolled: 16-line block ×9, first 2 shown]
	s_waitcnt vmcnt(0) lgkmcnt(0)
	v_mul_f64 v[4:5], v[12:13], v[2:3]
	v_fma_f64 v[4:5], v[10:11], v[0:1], v[4:5]
	v_mul_f64 v[0:1], v[12:13], v[0:1]
	v_mul_f64 v[4:5], v[4:5], s[2:3]
	v_fma_f64 v[0:1], v[10:11], v[2:3], -v[0:1]
	v_mul_f64 v[6:7], v[0:1], s[2:3]
	ds_read_b128 v[0:3], v130 offset:3200
	global_store_dwordx4 v[8:9], v[4:7], off
	s_clause 0x3
	buffer_load_dword v10, off, s[28:31], 0 offset:344
	buffer_load_dword v11, off, s[28:31], 0 offset:348
	;; [unrolled: 1-line block ×4, first 2 shown]
	v_mad_u64_u32 v[8:9], null, 0xffff5d80, s0, v[8:9]
	v_add_nc_u32_e32 v9, s1, v9
	s_waitcnt vmcnt(0) lgkmcnt(0)
	v_mul_f64 v[4:5], v[12:13], v[2:3]
	v_fma_f64 v[4:5], v[10:11], v[0:1], v[4:5]
	v_mul_f64 v[0:1], v[12:13], v[0:1]
	v_mul_f64 v[4:5], v[4:5], s[2:3]
	v_fma_f64 v[0:1], v[10:11], v[2:3], -v[0:1]
	v_mul_f64 v[6:7], v[0:1], s[2:3]
	ds_read_b128 v[0:3], v130 offset:8000
	global_store_dwordx4 v[8:9], v[4:7], off
	s_clause 0x3
	buffer_load_dword v10, off, s[28:31], 0 offset:360
	buffer_load_dword v11, off, s[28:31], 0 offset:364
	buffer_load_dword v12, off, s[28:31], 0 offset:368
	buffer_load_dword v13, off, s[28:31], 0 offset:372
	v_add_co_u32 v8, vcc_lo, v8, s5
	v_add_co_ci_u32_e32 v9, vcc_lo, s4, v9, vcc_lo
	s_waitcnt vmcnt(0) lgkmcnt(0)
	v_mul_f64 v[4:5], v[12:13], v[2:3]
	v_fma_f64 v[4:5], v[10:11], v[0:1], v[4:5]
	v_mul_f64 v[0:1], v[12:13], v[0:1]
	v_mul_f64 v[4:5], v[4:5], s[2:3]
	v_fma_f64 v[0:1], v[10:11], v[2:3], -v[0:1]
	v_mul_f64 v[6:7], v[0:1], s[2:3]
	ds_read_b128 v[0:3], v130 offset:12800
	global_store_dwordx4 v[8:9], v[4:7], off
	s_clause 0x3
	buffer_load_dword v10, off, s[28:31], 0 offset:376
	buffer_load_dword v11, off, s[28:31], 0 offset:380
	buffer_load_dword v12, off, s[28:31], 0 offset:384
	buffer_load_dword v13, off, s[28:31], 0 offset:388
	v_add_co_u32 v8, vcc_lo, v8, s5
	v_add_co_ci_u32_e32 v9, vcc_lo, s4, v9, vcc_lo
	;; [unrolled: 16-line block ×6, first 2 shown]
	s_waitcnt vmcnt(0) lgkmcnt(0)
	v_mul_f64 v[4:5], v[12:13], v[2:3]
	v_fma_f64 v[4:5], v[10:11], v[0:1], v[4:5]
	v_mul_f64 v[0:1], v[12:13], v[0:1]
	v_mul_f64 v[4:5], v[4:5], s[2:3]
	v_fma_f64 v[0:1], v[10:11], v[2:3], -v[0:1]
	v_mul_f64 v[6:7], v[0:1], s[2:3]
	ds_read_b128 v[0:3], v130 offset:36800
	global_store_dwordx4 v[8:9], v[4:7], off
	s_clause 0x3
	buffer_load_dword v10, off, s[28:31], 0 offset:440
	buffer_load_dword v11, off, s[28:31], 0 offset:444
	;; [unrolled: 1-line block ×4, first 2 shown]
	s_waitcnt vmcnt(0) lgkmcnt(0)
	v_mul_f64 v[4:5], v[12:13], v[2:3]
	v_fma_f64 v[4:5], v[10:11], v[0:1], v[4:5]
	v_mul_f64 v[0:1], v[12:13], v[0:1]
	v_mul_f64 v[4:5], v[4:5], s[2:3]
	v_fma_f64 v[0:1], v[10:11], v[2:3], -v[0:1]
	v_add_co_u32 v10, vcc_lo, v8, s5
	v_add_co_ci_u32_e32 v11, vcc_lo, s4, v9, vcc_lo
	v_mul_f64 v[6:7], v[0:1], s[2:3]
	ds_read_b128 v[0:3], v130 offset:41600
	global_store_dwordx4 v[10:11], v[4:7], off
	s_clause 0x3
	buffer_load_dword v12, off, s[28:31], 0 offset:472
	buffer_load_dword v13, off, s[28:31], 0 offset:476
	;; [unrolled: 1-line block ×4, first 2 shown]
	s_waitcnt vmcnt(0) lgkmcnt(0)
	v_mul_f64 v[4:5], v[14:15], v[2:3]
	v_fma_f64 v[4:5], v[12:13], v[0:1], v[4:5]
	v_mul_f64 v[0:1], v[14:15], v[0:1]
	v_mul_f64 v[6:7], v[4:5], s[2:3]
	v_fma_f64 v[0:1], v[12:13], v[2:3], -v[0:1]
	v_add_co_u32 v4, vcc_lo, v10, s5
	v_add_co_ci_u32_e32 v5, vcc_lo, s4, v11, vcc_lo
	v_mul_f64 v[8:9], v[0:1], s[2:3]
	ds_read_b128 v[0:3], v130 offset:46400
	global_store_dwordx4 v[4:5], v[6:9], off
	s_clause 0x3
	buffer_load_dword v8, off, s[28:31], 0 offset:24
	buffer_load_dword v9, off, s[28:31], 0 offset:28
	buffer_load_dword v10, off, s[28:31], 0 offset:32
	buffer_load_dword v11, off, s[28:31], 0 offset:36
	s_waitcnt vmcnt(0) lgkmcnt(0)
	v_mul_f64 v[6:7], v[10:11], v[2:3]
	v_fma_f64 v[6:7], v[8:9], v[0:1], v[6:7]
	v_mul_f64 v[0:1], v[10:11], v[0:1]
	v_mul_f64 v[6:7], v[6:7], s[2:3]
	v_fma_f64 v[0:1], v[8:9], v[2:3], -v[0:1]
	v_mul_f64 v[8:9], v[0:1], s[2:3]
	v_add_co_u32 v0, vcc_lo, v4, s5
	v_add_co_ci_u32_e32 v1, vcc_lo, s4, v5, vcc_lo
	global_store_dwordx4 v[0:1], v[6:9], off
.LBB0_2:
	s_endpgm
	.section	.rodata,"a",@progbits
	.p2align	6, 0x0
	.amdhsa_kernel bluestein_single_fwd_len3000_dim1_dp_op_CI_CI
		.amdhsa_group_segment_fixed_size 48000
		.amdhsa_private_segment_fixed_size 1392
		.amdhsa_kernarg_size 104
		.amdhsa_user_sgpr_count 6
		.amdhsa_user_sgpr_private_segment_buffer 1
		.amdhsa_user_sgpr_dispatch_ptr 0
		.amdhsa_user_sgpr_queue_ptr 0
		.amdhsa_user_sgpr_kernarg_segment_ptr 1
		.amdhsa_user_sgpr_dispatch_id 0
		.amdhsa_user_sgpr_flat_scratch_init 0
		.amdhsa_user_sgpr_private_segment_size 0
		.amdhsa_wavefront_size32 1
		.amdhsa_uses_dynamic_stack 0
		.amdhsa_system_sgpr_private_segment_wavefront_offset 1
		.amdhsa_system_sgpr_workgroup_id_x 1
		.amdhsa_system_sgpr_workgroup_id_y 0
		.amdhsa_system_sgpr_workgroup_id_z 0
		.amdhsa_system_sgpr_workgroup_info 0
		.amdhsa_system_vgpr_workitem_id 0
		.amdhsa_next_free_vgpr 256
		.amdhsa_next_free_sgpr 32
		.amdhsa_reserve_vcc 1
		.amdhsa_reserve_flat_scratch 0
		.amdhsa_float_round_mode_32 0
		.amdhsa_float_round_mode_16_64 0
		.amdhsa_float_denorm_mode_32 3
		.amdhsa_float_denorm_mode_16_64 3
		.amdhsa_dx10_clamp 1
		.amdhsa_ieee_mode 1
		.amdhsa_fp16_overflow 0
		.amdhsa_workgroup_processor_mode 1
		.amdhsa_memory_ordered 1
		.amdhsa_forward_progress 0
		.amdhsa_shared_vgpr_count 0
		.amdhsa_exception_fp_ieee_invalid_op 0
		.amdhsa_exception_fp_denorm_src 0
		.amdhsa_exception_fp_ieee_div_zero 0
		.amdhsa_exception_fp_ieee_overflow 0
		.amdhsa_exception_fp_ieee_underflow 0
		.amdhsa_exception_fp_ieee_inexact 0
		.amdhsa_exception_int_div_zero 0
	.end_amdhsa_kernel
	.text
.Lfunc_end0:
	.size	bluestein_single_fwd_len3000_dim1_dp_op_CI_CI, .Lfunc_end0-bluestein_single_fwd_len3000_dim1_dp_op_CI_CI
                                        ; -- End function
	.section	.AMDGPU.csdata,"",@progbits
; Kernel info:
; codeLenInByte = 48544
; NumSgprs: 34
; NumVgprs: 256
; ScratchSize: 1392
; MemoryBound: 0
; FloatMode: 240
; IeeeMode: 1
; LDSByteSize: 48000 bytes/workgroup (compile time only)
; SGPRBlocks: 4
; VGPRBlocks: 31
; NumSGPRsForWavesPerEU: 34
; NumVGPRsForWavesPerEU: 256
; Occupancy: 2
; WaveLimiterHint : 1
; COMPUTE_PGM_RSRC2:SCRATCH_EN: 1
; COMPUTE_PGM_RSRC2:USER_SGPR: 6
; COMPUTE_PGM_RSRC2:TRAP_HANDLER: 0
; COMPUTE_PGM_RSRC2:TGID_X_EN: 1
; COMPUTE_PGM_RSRC2:TGID_Y_EN: 0
; COMPUTE_PGM_RSRC2:TGID_Z_EN: 0
; COMPUTE_PGM_RSRC2:TIDIG_COMP_CNT: 0
	.text
	.p2alignl 6, 3214868480
	.fill 48, 4, 3214868480
	.type	__hip_cuid_b53867d8afd9acc9,@object ; @__hip_cuid_b53867d8afd9acc9
	.section	.bss,"aw",@nobits
	.globl	__hip_cuid_b53867d8afd9acc9
__hip_cuid_b53867d8afd9acc9:
	.byte	0                               ; 0x0
	.size	__hip_cuid_b53867d8afd9acc9, 1

	.ident	"AMD clang version 19.0.0git (https://github.com/RadeonOpenCompute/llvm-project roc-6.4.0 25133 c7fe45cf4b819c5991fe208aaa96edf142730f1d)"
	.section	".note.GNU-stack","",@progbits
	.addrsig
	.addrsig_sym __hip_cuid_b53867d8afd9acc9
	.amdgpu_metadata
---
amdhsa.kernels:
  - .args:
      - .actual_access:  read_only
        .address_space:  global
        .offset:         0
        .size:           8
        .value_kind:     global_buffer
      - .actual_access:  read_only
        .address_space:  global
        .offset:         8
        .size:           8
        .value_kind:     global_buffer
      - .actual_access:  read_only
        .address_space:  global
        .offset:         16
        .size:           8
        .value_kind:     global_buffer
      - .actual_access:  read_only
        .address_space:  global
        .offset:         24
        .size:           8
        .value_kind:     global_buffer
      - .actual_access:  read_only
        .address_space:  global
        .offset:         32
        .size:           8
        .value_kind:     global_buffer
      - .offset:         40
        .size:           8
        .value_kind:     by_value
      - .address_space:  global
        .offset:         48
        .size:           8
        .value_kind:     global_buffer
      - .address_space:  global
        .offset:         56
        .size:           8
        .value_kind:     global_buffer
      - .address_space:  global
        .offset:         64
        .size:           8
        .value_kind:     global_buffer
      - .address_space:  global
        .offset:         72
        .size:           8
        .value_kind:     global_buffer
      - .offset:         80
        .size:           4
        .value_kind:     by_value
      - .address_space:  global
        .offset:         88
        .size:           8
        .value_kind:     global_buffer
      - .address_space:  global
        .offset:         96
        .size:           8
        .value_kind:     global_buffer
    .group_segment_fixed_size: 48000
    .kernarg_segment_align: 8
    .kernarg_segment_size: 104
    .language:       OpenCL C
    .language_version:
      - 2
      - 0
    .max_flat_workgroup_size: 100
    .name:           bluestein_single_fwd_len3000_dim1_dp_op_CI_CI
    .private_segment_fixed_size: 1392
    .sgpr_count:     34
    .sgpr_spill_count: 0
    .symbol:         bluestein_single_fwd_len3000_dim1_dp_op_CI_CI.kd
    .uniform_work_group_size: 1
    .uses_dynamic_stack: false
    .vgpr_count:     256
    .vgpr_spill_count: 347
    .wavefront_size: 32
    .workgroup_processor_mode: 1
amdhsa.target:   amdgcn-amd-amdhsa--gfx1030
amdhsa.version:
  - 1
  - 2
...

	.end_amdgpu_metadata
